;; amdgpu-corpus repo=ROCm/rocFFT kind=compiled arch=gfx1201 opt=O3
	.text
	.amdgcn_target "amdgcn-amd-amdhsa--gfx1201"
	.amdhsa_code_object_version 6
	.protected	fft_rtc_back_len3600_factors_10_10_6_6_wgs_120_tpt_120_halfLds_sp_op_CI_CI_unitstride_sbrr_C2R_dirReg ; -- Begin function fft_rtc_back_len3600_factors_10_10_6_6_wgs_120_tpt_120_halfLds_sp_op_CI_CI_unitstride_sbrr_C2R_dirReg
	.globl	fft_rtc_back_len3600_factors_10_10_6_6_wgs_120_tpt_120_halfLds_sp_op_CI_CI_unitstride_sbrr_C2R_dirReg
	.p2align	8
	.type	fft_rtc_back_len3600_factors_10_10_6_6_wgs_120_tpt_120_halfLds_sp_op_CI_CI_unitstride_sbrr_C2R_dirReg,@function
fft_rtc_back_len3600_factors_10_10_6_6_wgs_120_tpt_120_halfLds_sp_op_CI_CI_unitstride_sbrr_C2R_dirReg: ; @fft_rtc_back_len3600_factors_10_10_6_6_wgs_120_tpt_120_halfLds_sp_op_CI_CI_unitstride_sbrr_C2R_dirReg
; %bb.0:
	s_clause 0x2
	s_load_b128 s[8:11], s[0:1], 0x0
	s_load_b128 s[4:7], s[0:1], 0x58
	;; [unrolled: 1-line block ×3, first 2 shown]
	v_mul_u32_u24_e32 v1, 0x223, v0
	v_mov_b32_e32 v3, 0
	s_delay_alu instid0(VALU_DEP_2) | instskip(NEXT) | instid1(VALU_DEP_1)
	v_lshrrev_b32_e32 v1, 16, v1
	v_add_nc_u32_e32 v5, ttmp9, v1
	v_mov_b32_e32 v1, 0
	v_mov_b32_e32 v2, 0
	;; [unrolled: 1-line block ×3, first 2 shown]
	s_wait_kmcnt 0x0
	v_cmp_lt_u64_e64 s2, s[10:11], 2
	s_delay_alu instid0(VALU_DEP_1)
	s_and_b32 vcc_lo, exec_lo, s2
	s_cbranch_vccnz .LBB0_8
; %bb.1:
	s_load_b64 s[2:3], s[0:1], 0x10
	v_mov_b32_e32 v1, 0
	v_mov_b32_e32 v2, 0
	s_add_nc_u64 s[16:17], s[14:15], 8
	s_add_nc_u64 s[18:19], s[12:13], 8
	s_mov_b64 s[20:21], 1
	s_delay_alu instid0(VALU_DEP_1)
	v_dual_mov_b32 v11, v2 :: v_dual_mov_b32 v10, v1
	s_wait_kmcnt 0x0
	s_add_nc_u64 s[22:23], s[2:3], 8
	s_mov_b32 s3, 0
.LBB0_2:                                ; =>This Inner Loop Header: Depth=1
	s_load_b64 s[24:25], s[22:23], 0x0
                                        ; implicit-def: $vgpr12_vgpr13
	s_mov_b32 s2, exec_lo
	s_wait_kmcnt 0x0
	v_or_b32_e32 v4, s25, v6
	s_delay_alu instid0(VALU_DEP_1)
	v_cmpx_ne_u64_e32 0, v[3:4]
	s_wait_alu 0xfffe
	s_xor_b32 s26, exec_lo, s2
	s_cbranch_execz .LBB0_4
; %bb.3:                                ;   in Loop: Header=BB0_2 Depth=1
	s_cvt_f32_u32 s2, s24
	s_cvt_f32_u32 s27, s25
	s_sub_nc_u64 s[30:31], 0, s[24:25]
	s_wait_alu 0xfffe
	s_delay_alu instid0(SALU_CYCLE_1) | instskip(SKIP_1) | instid1(SALU_CYCLE_2)
	s_fmamk_f32 s2, s27, 0x4f800000, s2
	s_wait_alu 0xfffe
	v_s_rcp_f32 s2, s2
	s_delay_alu instid0(TRANS32_DEP_1) | instskip(SKIP_1) | instid1(SALU_CYCLE_2)
	s_mul_f32 s2, s2, 0x5f7ffffc
	s_wait_alu 0xfffe
	s_mul_f32 s27, s2, 0x2f800000
	s_wait_alu 0xfffe
	s_delay_alu instid0(SALU_CYCLE_2) | instskip(SKIP_1) | instid1(SALU_CYCLE_2)
	s_trunc_f32 s27, s27
	s_wait_alu 0xfffe
	s_fmamk_f32 s2, s27, 0xcf800000, s2
	s_cvt_u32_f32 s29, s27
	s_wait_alu 0xfffe
	s_delay_alu instid0(SALU_CYCLE_1) | instskip(SKIP_1) | instid1(SALU_CYCLE_2)
	s_cvt_u32_f32 s28, s2
	s_wait_alu 0xfffe
	s_mul_u64 s[34:35], s[30:31], s[28:29]
	s_wait_alu 0xfffe
	s_mul_hi_u32 s37, s28, s35
	s_mul_i32 s36, s28, s35
	s_mul_hi_u32 s2, s28, s34
	s_mul_i32 s33, s29, s34
	s_wait_alu 0xfffe
	s_add_nc_u64 s[36:37], s[2:3], s[36:37]
	s_mul_hi_u32 s27, s29, s34
	s_mul_hi_u32 s38, s29, s35
	s_add_co_u32 s2, s36, s33
	s_wait_alu 0xfffe
	s_add_co_ci_u32 s2, s37, s27
	s_mul_i32 s34, s29, s35
	s_add_co_ci_u32 s35, s38, 0
	s_wait_alu 0xfffe
	s_add_nc_u64 s[34:35], s[2:3], s[34:35]
	s_wait_alu 0xfffe
	v_add_co_u32 v4, s2, s28, s34
	s_delay_alu instid0(VALU_DEP_1) | instskip(SKIP_1) | instid1(VALU_DEP_1)
	s_cmp_lg_u32 s2, 0
	s_add_co_ci_u32 s29, s29, s35
	v_readfirstlane_b32 s28, v4
	s_wait_alu 0xfffe
	s_delay_alu instid0(VALU_DEP_1)
	s_mul_u64 s[30:31], s[30:31], s[28:29]
	s_wait_alu 0xfffe
	s_mul_hi_u32 s35, s28, s31
	s_mul_i32 s34, s28, s31
	s_mul_hi_u32 s2, s28, s30
	s_mul_i32 s33, s29, s30
	s_wait_alu 0xfffe
	s_add_nc_u64 s[34:35], s[2:3], s[34:35]
	s_mul_hi_u32 s27, s29, s30
	s_mul_hi_u32 s28, s29, s31
	s_wait_alu 0xfffe
	s_add_co_u32 s2, s34, s33
	s_add_co_ci_u32 s2, s35, s27
	s_mul_i32 s30, s29, s31
	s_add_co_ci_u32 s31, s28, 0
	s_wait_alu 0xfffe
	s_add_nc_u64 s[30:31], s[2:3], s[30:31]
	s_wait_alu 0xfffe
	v_add_co_u32 v4, s2, v4, s30
	s_delay_alu instid0(VALU_DEP_1) | instskip(SKIP_1) | instid1(VALU_DEP_1)
	s_cmp_lg_u32 s2, 0
	s_add_co_ci_u32 s2, s29, s31
	v_mul_hi_u32 v9, v5, v4
	s_wait_alu 0xfffe
	v_mad_co_u64_u32 v[7:8], null, v5, s2, 0
	v_mad_co_u64_u32 v[12:13], null, v6, v4, 0
	;; [unrolled: 1-line block ×3, first 2 shown]
	s_delay_alu instid0(VALU_DEP_3) | instskip(SKIP_1) | instid1(VALU_DEP_4)
	v_add_co_u32 v4, vcc_lo, v9, v7
	s_wait_alu 0xfffd
	v_add_co_ci_u32_e32 v7, vcc_lo, 0, v8, vcc_lo
	s_delay_alu instid0(VALU_DEP_2) | instskip(SKIP_1) | instid1(VALU_DEP_2)
	v_add_co_u32 v4, vcc_lo, v4, v12
	s_wait_alu 0xfffd
	v_add_co_ci_u32_e32 v4, vcc_lo, v7, v13, vcc_lo
	s_wait_alu 0xfffd
	v_add_co_ci_u32_e32 v7, vcc_lo, 0, v15, vcc_lo
	s_delay_alu instid0(VALU_DEP_2) | instskip(SKIP_1) | instid1(VALU_DEP_2)
	v_add_co_u32 v4, vcc_lo, v4, v14
	s_wait_alu 0xfffd
	v_add_co_ci_u32_e32 v9, vcc_lo, 0, v7, vcc_lo
	s_delay_alu instid0(VALU_DEP_2) | instskip(SKIP_1) | instid1(VALU_DEP_3)
	v_mul_lo_u32 v12, s25, v4
	v_mad_co_u64_u32 v[7:8], null, s24, v4, 0
	v_mul_lo_u32 v13, s24, v9
	s_delay_alu instid0(VALU_DEP_2) | instskip(NEXT) | instid1(VALU_DEP_2)
	v_sub_co_u32 v7, vcc_lo, v5, v7
	v_add3_u32 v8, v8, v13, v12
	s_delay_alu instid0(VALU_DEP_1) | instskip(SKIP_1) | instid1(VALU_DEP_1)
	v_sub_nc_u32_e32 v12, v6, v8
	s_wait_alu 0xfffd
	v_subrev_co_ci_u32_e64 v12, s2, s25, v12, vcc_lo
	v_add_co_u32 v13, s2, v4, 2
	s_wait_alu 0xf1ff
	v_add_co_ci_u32_e64 v14, s2, 0, v9, s2
	v_sub_co_u32 v15, s2, v7, s24
	v_sub_co_ci_u32_e32 v8, vcc_lo, v6, v8, vcc_lo
	s_wait_alu 0xf1ff
	v_subrev_co_ci_u32_e64 v12, s2, 0, v12, s2
	s_delay_alu instid0(VALU_DEP_3) | instskip(NEXT) | instid1(VALU_DEP_3)
	v_cmp_le_u32_e32 vcc_lo, s24, v15
	v_cmp_eq_u32_e64 s2, s25, v8
	s_wait_alu 0xfffd
	v_cndmask_b32_e64 v15, 0, -1, vcc_lo
	v_cmp_le_u32_e32 vcc_lo, s25, v12
	s_wait_alu 0xfffd
	v_cndmask_b32_e64 v16, 0, -1, vcc_lo
	v_cmp_le_u32_e32 vcc_lo, s24, v7
	;; [unrolled: 3-line block ×3, first 2 shown]
	s_wait_alu 0xfffd
	v_cndmask_b32_e64 v17, 0, -1, vcc_lo
	v_cmp_eq_u32_e32 vcc_lo, s25, v12
	s_wait_alu 0xf1ff
	s_delay_alu instid0(VALU_DEP_2)
	v_cndmask_b32_e64 v7, v17, v7, s2
	s_wait_alu 0xfffd
	v_cndmask_b32_e32 v12, v16, v15, vcc_lo
	v_add_co_u32 v15, vcc_lo, v4, 1
	s_wait_alu 0xfffd
	v_add_co_ci_u32_e32 v16, vcc_lo, 0, v9, vcc_lo
	s_delay_alu instid0(VALU_DEP_3) | instskip(SKIP_1) | instid1(VALU_DEP_2)
	v_cmp_ne_u32_e32 vcc_lo, 0, v12
	s_wait_alu 0xfffd
	v_cndmask_b32_e32 v8, v16, v14, vcc_lo
	v_cndmask_b32_e32 v12, v15, v13, vcc_lo
	v_cmp_ne_u32_e32 vcc_lo, 0, v7
	s_wait_alu 0xfffd
	s_delay_alu instid0(VALU_DEP_3) | instskip(NEXT) | instid1(VALU_DEP_3)
	v_cndmask_b32_e32 v13, v9, v8, vcc_lo
	v_cndmask_b32_e32 v12, v4, v12, vcc_lo
.LBB0_4:                                ;   in Loop: Header=BB0_2 Depth=1
	s_wait_alu 0xfffe
	s_and_not1_saveexec_b32 s2, s26
	s_cbranch_execz .LBB0_6
; %bb.5:                                ;   in Loop: Header=BB0_2 Depth=1
	v_cvt_f32_u32_e32 v4, s24
	s_sub_co_i32 s26, 0, s24
	v_mov_b32_e32 v13, v3
	s_delay_alu instid0(VALU_DEP_2) | instskip(NEXT) | instid1(TRANS32_DEP_1)
	v_rcp_iflag_f32_e32 v4, v4
	v_mul_f32_e32 v4, 0x4f7ffffe, v4
	s_delay_alu instid0(VALU_DEP_1) | instskip(SKIP_1) | instid1(VALU_DEP_1)
	v_cvt_u32_f32_e32 v4, v4
	s_wait_alu 0xfffe
	v_mul_lo_u32 v7, s26, v4
	s_delay_alu instid0(VALU_DEP_1) | instskip(NEXT) | instid1(VALU_DEP_1)
	v_mul_hi_u32 v7, v4, v7
	v_add_nc_u32_e32 v4, v4, v7
	s_delay_alu instid0(VALU_DEP_1) | instskip(NEXT) | instid1(VALU_DEP_1)
	v_mul_hi_u32 v4, v5, v4
	v_mul_lo_u32 v7, v4, s24
	v_add_nc_u32_e32 v8, 1, v4
	s_delay_alu instid0(VALU_DEP_2) | instskip(NEXT) | instid1(VALU_DEP_1)
	v_sub_nc_u32_e32 v7, v5, v7
	v_subrev_nc_u32_e32 v9, s24, v7
	v_cmp_le_u32_e32 vcc_lo, s24, v7
	s_wait_alu 0xfffd
	s_delay_alu instid0(VALU_DEP_2) | instskip(NEXT) | instid1(VALU_DEP_1)
	v_dual_cndmask_b32 v7, v7, v9 :: v_dual_cndmask_b32 v4, v4, v8
	v_cmp_le_u32_e32 vcc_lo, s24, v7
	s_delay_alu instid0(VALU_DEP_2) | instskip(SKIP_1) | instid1(VALU_DEP_1)
	v_add_nc_u32_e32 v8, 1, v4
	s_wait_alu 0xfffd
	v_cndmask_b32_e32 v12, v4, v8, vcc_lo
.LBB0_6:                                ;   in Loop: Header=BB0_2 Depth=1
	s_wait_alu 0xfffe
	s_or_b32 exec_lo, exec_lo, s2
	v_mul_lo_u32 v4, v13, s24
	s_delay_alu instid0(VALU_DEP_2)
	v_mul_lo_u32 v9, v12, s25
	s_load_b64 s[26:27], s[18:19], 0x0
	v_mad_co_u64_u32 v[7:8], null, v12, s24, 0
	s_load_b64 s[24:25], s[16:17], 0x0
	s_add_nc_u64 s[20:21], s[20:21], 1
	s_add_nc_u64 s[16:17], s[16:17], 8
	s_wait_alu 0xfffe
	v_cmp_ge_u64_e64 s2, s[20:21], s[10:11]
	s_add_nc_u64 s[18:19], s[18:19], 8
	s_add_nc_u64 s[22:23], s[22:23], 8
	v_add3_u32 v4, v8, v9, v4
	v_sub_co_u32 v5, vcc_lo, v5, v7
	s_wait_alu 0xfffd
	s_delay_alu instid0(VALU_DEP_2) | instskip(SKIP_2) | instid1(VALU_DEP_1)
	v_sub_co_ci_u32_e32 v4, vcc_lo, v6, v4, vcc_lo
	s_and_b32 vcc_lo, exec_lo, s2
	s_wait_kmcnt 0x0
	v_mul_lo_u32 v6, s26, v4
	v_mul_lo_u32 v7, s27, v5
	v_mad_co_u64_u32 v[1:2], null, s26, v5, v[1:2]
	v_mul_lo_u32 v4, s24, v4
	v_mul_lo_u32 v8, s25, v5
	v_mad_co_u64_u32 v[10:11], null, s24, v5, v[10:11]
	s_delay_alu instid0(VALU_DEP_4) | instskip(NEXT) | instid1(VALU_DEP_2)
	v_add3_u32 v2, v7, v2, v6
	v_add3_u32 v11, v8, v11, v4
	s_wait_alu 0xfffe
	s_cbranch_vccnz .LBB0_9
; %bb.7:                                ;   in Loop: Header=BB0_2 Depth=1
	v_dual_mov_b32 v5, v12 :: v_dual_mov_b32 v6, v13
	s_branch .LBB0_2
.LBB0_8:
	v_dual_mov_b32 v11, v2 :: v_dual_mov_b32 v10, v1
	v_dual_mov_b32 v13, v6 :: v_dual_mov_b32 v12, v5
.LBB0_9:
	s_load_b64 s[0:1], s[0:1], 0x28
	v_mul_hi_u32 v3, 0x2222223, v0
	s_lshl_b64 s[10:11], s[10:11], 3
                                        ; implicit-def: $vgpr8
	s_wait_alu 0xfffe
	s_add_nc_u64 s[2:3], s[14:15], s[10:11]
	s_wait_kmcnt 0x0
	v_cmp_gt_u64_e32 vcc_lo, s[0:1], v[12:13]
	v_cmp_le_u64_e64 s0, s[0:1], v[12:13]
	s_delay_alu instid0(VALU_DEP_1)
	s_and_saveexec_b32 s1, s0
	s_wait_alu 0xfffe
	s_xor_b32 s0, exec_lo, s1
; %bb.10:
	v_mul_u32_u24_e32 v1, 0x78, v3
                                        ; implicit-def: $vgpr3
	s_delay_alu instid0(VALU_DEP_1)
	v_sub_nc_u32_e32 v8, v0, v1
                                        ; implicit-def: $vgpr0
                                        ; implicit-def: $vgpr1_vgpr2
; %bb.11:
	s_wait_alu 0xfffe
	s_or_saveexec_b32 s1, s0
	s_load_b64 s[2:3], s[2:3], 0x0
	s_xor_b32 exec_lo, exec_lo, s1
	s_cbranch_execz .LBB0_15
; %bb.12:
	s_add_nc_u64 s[10:11], s[12:13], s[10:11]
	v_lshlrev_b64_e32 v[1:2], 3, v[1:2]
	s_load_b64 s[10:11], s[10:11], 0x0
	s_wait_kmcnt 0x0
	v_mul_lo_u32 v6, s11, v12
	v_mul_lo_u32 v7, s10, v13
	v_mad_co_u64_u32 v[4:5], null, s10, v12, 0
	s_delay_alu instid0(VALU_DEP_1) | instskip(SKIP_1) | instid1(VALU_DEP_2)
	v_add3_u32 v5, v5, v7, v6
	v_mul_u32_u24_e32 v6, 0x78, v3
	v_lshlrev_b64_e32 v[3:4], 3, v[4:5]
	s_delay_alu instid0(VALU_DEP_2) | instskip(NEXT) | instid1(VALU_DEP_1)
	v_sub_nc_u32_e32 v8, v0, v6
	v_lshlrev_b32_e32 v9, 3, v8
	s_delay_alu instid0(VALU_DEP_3) | instskip(SKIP_1) | instid1(VALU_DEP_4)
	v_add_co_u32 v0, s0, s4, v3
	s_wait_alu 0xf1ff
	v_add_co_ci_u32_e64 v3, s0, s5, v4, s0
	s_delay_alu instid0(VALU_DEP_2) | instskip(SKIP_1) | instid1(VALU_DEP_2)
	v_add_co_u32 v0, s0, v0, v1
	s_wait_alu 0xf1ff
	v_add_co_ci_u32_e64 v1, s0, v3, v2, s0
	s_delay_alu instid0(VALU_DEP_2) | instskip(SKIP_1) | instid1(VALU_DEP_2)
	v_add_co_u32 v2, s0, v0, v9
	s_wait_alu 0xf1ff
	v_add_co_ci_u32_e64 v3, s0, 0, v1, s0
	s_clause 0x1d
	global_load_b64 v[4:5], v[2:3], off
	global_load_b64 v[6:7], v[2:3], off offset:960
	global_load_b64 v[14:15], v[2:3], off offset:1920
	;; [unrolled: 1-line block ×29, first 2 shown]
	v_add_nc_u32_e32 v9, 0, v9
	v_cmp_eq_u32_e64 s0, 0x77, v8
	s_delay_alu instid0(VALU_DEP_2)
	v_add_nc_u32_e32 v68, 0x400, v9
	v_add_nc_u32_e32 v69, 0xc00, v9
	;; [unrolled: 1-line block ×14, first 2 shown]
	s_wait_loadcnt 0x1c
	ds_store_2addr_b64 v9, v[4:5], v[6:7] offset1:120
	s_wait_loadcnt 0x1a
	ds_store_2addr_b64 v68, v[14:15], v[16:17] offset0:112 offset1:232
	s_wait_loadcnt 0x18
	ds_store_2addr_b64 v69, v[18:19], v[20:21] offset0:96 offset1:216
	;; [unrolled: 2-line block ×14, first 2 shown]
	s_and_saveexec_b32 s4, s0
	s_cbranch_execz .LBB0_14
; %bb.13:
	global_load_b64 v[0:1], v[0:1], off offset:28800
	v_mov_b32_e32 v2, 0
	v_mov_b32_e32 v8, 0x77
	s_wait_loadcnt 0x0
	ds_store_b64 v2, v[0:1] offset:28800
.LBB0_14:
	s_wait_alu 0xfffe
	s_or_b32 exec_lo, exec_lo, s4
.LBB0_15:
	s_delay_alu instid0(SALU_CYCLE_1)
	s_or_b32 exec_lo, exec_lo, s1
	v_lshlrev_b32_e32 v0, 3, v8
	global_wb scope:SCOPE_SE
	s_wait_dscnt 0x0
	s_wait_kmcnt 0x0
	s_barrier_signal -1
	s_barrier_wait -1
	global_inv scope:SCOPE_SE
	v_add_nc_u32_e32 v14, 0, v0
	v_sub_nc_u32_e32 v37, 0, v0
	s_mov_b32 s1, exec_lo
                                        ; implicit-def: $vgpr2_vgpr3
	ds_load_b32 v4, v14
	ds_load_b32 v5, v37 offset:28800
	s_wait_dscnt 0x0
	v_dual_sub_f32 v1, v4, v5 :: v_dual_add_f32 v0, v5, v4
	v_cmpx_ne_u32_e32 0, v8
	s_wait_alu 0xfffe
	s_xor_b32 s1, exec_lo, s1
	s_cbranch_execz .LBB0_17
; %bb.16:
	v_dual_mov_b32 v9, 0 :: v_dual_add_f32 v6, v5, v4
	s_delay_alu instid0(VALU_DEP_1) | instskip(NEXT) | instid1(VALU_DEP_1)
	v_lshlrev_b64_e32 v[0:1], 3, v[8:9]
	v_add_co_u32 v0, s0, s8, v0
	s_wait_alu 0xf1ff
	s_delay_alu instid0(VALU_DEP_2)
	v_add_co_ci_u32_e64 v1, s0, s9, v1, s0
	global_load_b64 v[2:3], v[0:1], off offset:28720
	ds_load_b32 v0, v37 offset:28804
	ds_load_b32 v1, v14 offset:4
	v_sub_f32_e32 v7, v4, v5
	s_wait_dscnt 0x0
	v_dual_add_f32 v15, v0, v1 :: v_dual_sub_f32 v0, v1, v0
	s_wait_loadcnt 0x0
	s_delay_alu instid0(VALU_DEP_1) | instskip(SKIP_3) | instid1(VALU_DEP_3)
	v_fma_f32 v1, v15, v3, v0
	v_fma_f32 v4, -v7, v3, v6
	v_fma_f32 v5, v15, v3, -v0
	v_fma_f32 v16, v7, v3, v6
	v_dual_fmac_f32 v1, v7, v2 :: v_dual_fmac_f32 v4, v2, v15
	s_delay_alu instid0(VALU_DEP_3) | instskip(NEXT) | instid1(VALU_DEP_3)
	v_fmac_f32_e32 v5, v7, v2
	v_fma_f32 v0, -v2, v15, v16
	v_dual_mov_b32 v2, v8 :: v_dual_mov_b32 v3, v9
	ds_store_b64 v37, v[4:5] offset:28800
.LBB0_17:
	s_wait_alu 0xfffe
	s_and_not1_saveexec_b32 s0, s1
	s_cbranch_execz .LBB0_19
; %bb.18:
	v_mov_b32_e32 v6, 0
	ds_load_b64 v[2:3], v6 offset:14400
	s_wait_dscnt 0x0
	v_dual_mul_f32 v5, -2.0, v3 :: v_dual_add_f32 v4, v2, v2
	v_mov_b32_e32 v2, 0
	v_mov_b32_e32 v3, 0
	ds_store_b64 v6, v[4:5] offset:14400
.LBB0_19:
	s_wait_alu 0xfffe
	s_or_b32 exec_lo, exec_lo, s0
	v_lshlrev_b64_e32 v[2:3], 3, v[2:3]
	s_add_nc_u64 s[0:1], s[8:9], 0x7030
	s_wait_alu 0xfffe
	s_delay_alu instid0(VALU_DEP_1) | instskip(SKIP_1) | instid1(VALU_DEP_2)
	v_add_co_u32 v4, s0, s0, v2
	s_wait_alu 0xf1ff
	v_add_co_ci_u32_e64 v5, s0, s1, v3, s0
	v_cmp_gt_u32_e64 s0, 0x64, v8
	s_clause 0x6
	global_load_b64 v[2:3], v[4:5], off offset:960
	global_load_b64 v[6:7], v[4:5], off offset:1920
	;; [unrolled: 1-line block ×7, first 2 shown]
	ds_store_b64 v14, v[0:1]
	ds_load_b64 v[0:1], v14 offset:960
	ds_load_b64 v[25:26], v37 offset:27840
	global_load_b64 v[27:28], v[4:5], off offset:7680
	s_wait_dscnt 0x0
	v_add_f32_e32 v9, v0, v25
	v_add_f32_e32 v29, v26, v1
	v_sub_f32_e32 v30, v0, v25
	v_sub_f32_e32 v0, v1, v26
	s_wait_loadcnt 0x7
	s_delay_alu instid0(VALU_DEP_2) | instskip(NEXT) | instid1(VALU_DEP_2)
	v_fma_f32 v31, v30, v3, v9
	v_fma_f32 v1, v29, v3, v0
	v_fma_f32 v25, -v30, v3, v9
	v_fma_f32 v26, v29, v3, -v0
	s_delay_alu instid0(VALU_DEP_4) | instskip(NEXT) | instid1(VALU_DEP_4)
	v_fma_f32 v0, -v2, v29, v31
	v_fmac_f32_e32 v1, v30, v2
	s_delay_alu instid0(VALU_DEP_4) | instskip(NEXT) | instid1(VALU_DEP_4)
	v_fmac_f32_e32 v25, v2, v29
	v_fmac_f32_e32 v26, v30, v2
	ds_store_b64 v14, v[0:1] offset:960
	ds_store_b64 v37, v[25:26] offset:27840
	ds_load_b64 v[0:1], v14 offset:1920
	ds_load_b64 v[2:3], v37 offset:26880
	global_load_b64 v[25:26], v[4:5], off offset:8640
	s_wait_dscnt 0x0
	v_add_f32_e32 v29, v3, v1
	v_add_f32_e32 v9, v0, v2
	v_sub_f32_e32 v30, v0, v2
	v_sub_f32_e32 v0, v1, v3
	s_wait_loadcnt 0x7
	s_delay_alu instid0(VALU_DEP_2) | instskip(NEXT) | instid1(VALU_DEP_2)
	v_fma_f32 v2, -v30, v7, v9
	v_fma_f32 v1, v29, v7, v0
	v_fma_f32 v3, v29, v7, -v0
	s_delay_alu instid0(VALU_DEP_3) | instskip(SKIP_1) | instid1(VALU_DEP_4)
	v_fmac_f32_e32 v2, v6, v29
	v_fma_f32 v31, v30, v7, v9
	v_fmac_f32_e32 v1, v30, v6
	s_delay_alu instid0(VALU_DEP_4) | instskip(NEXT) | instid1(VALU_DEP_3)
	v_fmac_f32_e32 v3, v30, v6
	v_fma_f32 v0, -v6, v29, v31
	ds_store_b64 v14, v[0:1] offset:1920
	ds_store_b64 v37, v[2:3] offset:26880
	ds_load_b64 v[0:1], v14 offset:2880
	ds_load_b64 v[2:3], v37 offset:25920
	global_load_b64 v[6:7], v[4:5], off offset:9600
	s_wait_dscnt 0x0
	v_add_f32_e32 v9, v0, v2
	v_dual_add_f32 v29, v3, v1 :: v_dual_sub_f32 v30, v0, v2
	v_sub_f32_e32 v0, v1, v3
	s_wait_loadcnt 0x7
	s_delay_alu instid0(VALU_DEP_2) | instskip(NEXT) | instid1(VALU_DEP_2)
	v_fma_f32 v31, v30, v16, v9
	v_fma_f32 v1, v29, v16, v0
	v_fma_f32 v2, -v30, v16, v9
	v_fma_f32 v3, v29, v16, -v0
	s_delay_alu instid0(VALU_DEP_4) | instskip(NEXT) | instid1(VALU_DEP_3)
	v_fma_f32 v0, -v15, v29, v31
	v_dual_fmac_f32 v1, v30, v15 :: v_dual_fmac_f32 v2, v15, v29
	s_delay_alu instid0(VALU_DEP_3)
	v_fmac_f32_e32 v3, v30, v15
	ds_store_b64 v14, v[0:1] offset:2880
	ds_store_b64 v37, v[2:3] offset:25920
	ds_load_b64 v[0:1], v14 offset:3840
	ds_load_b64 v[2:3], v37 offset:24960
	global_load_b64 v[15:16], v[4:5], off offset:10560
	s_wait_dscnt 0x0
	v_add_f32_e32 v9, v0, v2
	v_dual_add_f32 v29, v3, v1 :: v_dual_sub_f32 v30, v0, v2
	v_sub_f32_e32 v0, v1, v3
	s_wait_loadcnt 0x7
	s_delay_alu instid0(VALU_DEP_2) | instskip(NEXT) | instid1(VALU_DEP_2)
	v_fma_f32 v31, v30, v18, v9
	v_fma_f32 v1, v29, v18, v0
	v_fma_f32 v2, -v30, v18, v9
	v_fma_f32 v3, v29, v18, -v0
	s_delay_alu instid0(VALU_DEP_4) | instskip(NEXT) | instid1(VALU_DEP_4)
	v_fma_f32 v0, -v17, v29, v31
	v_fmac_f32_e32 v1, v30, v17
	s_delay_alu instid0(VALU_DEP_4) | instskip(NEXT) | instid1(VALU_DEP_4)
	v_fmac_f32_e32 v2, v17, v29
	v_fmac_f32_e32 v3, v30, v17
	ds_store_b64 v14, v[0:1] offset:3840
	ds_store_b64 v37, v[2:3] offset:24960
	ds_load_b64 v[0:1], v14 offset:4800
	ds_load_b64 v[2:3], v37 offset:24000
	global_load_b64 v[17:18], v[4:5], off offset:11520
	s_wait_dscnt 0x0
	v_add_f32_e32 v9, v0, v2
	v_dual_add_f32 v29, v3, v1 :: v_dual_sub_f32 v30, v0, v2
	v_sub_f32_e32 v0, v1, v3
	s_wait_loadcnt 0x7
	s_delay_alu instid0(VALU_DEP_2) | instskip(NEXT) | instid1(VALU_DEP_2)
	v_fma_f32 v31, v30, v20, v9
	v_fma_f32 v1, v29, v20, v0
	v_fma_f32 v2, -v30, v20, v9
	v_fma_f32 v3, v29, v20, -v0
	s_delay_alu instid0(VALU_DEP_4) | instskip(NEXT) | instid1(VALU_DEP_3)
	v_fma_f32 v0, -v19, v29, v31
	v_dual_fmac_f32 v1, v30, v19 :: v_dual_fmac_f32 v2, v19, v29
	s_delay_alu instid0(VALU_DEP_3)
	v_fmac_f32_e32 v3, v30, v19
	ds_store_b64 v14, v[0:1] offset:4800
	ds_store_b64 v37, v[2:3] offset:24000
	ds_load_b64 v[0:1], v14 offset:5760
	ds_load_b64 v[19:20], v37 offset:23040
	global_load_b64 v[2:3], v[4:5], off offset:12480
	s_wait_dscnt 0x0
	v_add_f32_e32 v9, v0, v19
	v_add_f32_e32 v29, v20, v1
	v_sub_f32_e32 v30, v0, v19
	v_sub_f32_e32 v0, v1, v20
	s_wait_loadcnt 0x7
	s_delay_alu instid0(VALU_DEP_2) | instskip(NEXT) | instid1(VALU_DEP_2)
	v_fma_f32 v31, v30, v22, v9
	v_fma_f32 v1, v29, v22, v0
	v_fma_f32 v19, -v30, v22, v9
	v_fma_f32 v20, v29, v22, -v0
	s_delay_alu instid0(VALU_DEP_4) | instskip(NEXT) | instid1(VALU_DEP_4)
	v_fma_f32 v0, -v21, v29, v31
	v_fmac_f32_e32 v1, v30, v21
	s_delay_alu instid0(VALU_DEP_4) | instskip(NEXT) | instid1(VALU_DEP_4)
	v_fmac_f32_e32 v19, v21, v29
	v_fmac_f32_e32 v20, v30, v21
	ds_store_b64 v14, v[0:1] offset:5760
	ds_store_b64 v37, v[19:20] offset:23040
	ds_load_b64 v[19:20], v14 offset:6720
	ds_load_b64 v[21:22], v37 offset:22080
	global_load_b64 v[0:1], v[4:5], off offset:13440
	v_add_nc_u16 v29, v8, 0x78
	v_mul_u32_u24_e32 v30, 10, v8
	s_wait_dscnt 0x0
	v_dual_add_f32 v4, v19, v21 :: v_dual_add_f32 v9, v22, v20
	v_dual_sub_f32 v21, v19, v21 :: v_dual_sub_f32 v20, v20, v22
	s_wait_loadcnt 0x7
	s_delay_alu instid0(VALU_DEP_1) | instskip(NEXT) | instid1(VALU_DEP_2)
	v_fma_f32 v22, v21, v24, v4
	v_fma_f32 v5, v9, v24, v20
	v_fma_f32 v19, -v21, v24, v4
	v_fma_f32 v20, v9, v24, -v20
	v_add_nc_u32_e32 v24, 0x3800, v14
	v_fma_f32 v4, -v23, v9, v22
	v_fmac_f32_e32 v5, v21, v23
	s_delay_alu instid0(VALU_DEP_4)
	v_dual_fmac_f32 v19, v23, v9 :: v_dual_fmac_f32 v20, v21, v23
	ds_store_b64 v14, v[4:5] offset:6720
	ds_store_b64 v37, v[19:20] offset:22080
	ds_load_b64 v[4:5], v14 offset:7680
	ds_load_b64 v[19:20], v37 offset:21120
	s_wait_dscnt 0x0
	v_add_f32_e32 v9, v4, v19
	v_add_f32_e32 v21, v20, v5
	v_sub_f32_e32 v22, v4, v19
	v_sub_f32_e32 v4, v5, v20
	s_wait_loadcnt 0x6
	s_delay_alu instid0(VALU_DEP_2) | instskip(NEXT) | instid1(VALU_DEP_2)
	v_fma_f32 v23, v22, v28, v9
	v_fma_f32 v5, v21, v28, v4
	v_fma_f32 v19, -v22, v28, v9
	v_fma_f32 v20, v21, v28, -v4
	v_add_nc_u32_e32 v28, 0xf0, v8
	v_fma_f32 v4, -v27, v21, v23
	v_fmac_f32_e32 v5, v22, v27
	s_delay_alu instid0(VALU_DEP_4)
	v_dual_fmac_f32 v19, v27, v21 :: v_dual_fmac_f32 v20, v22, v27
	ds_store_b64 v14, v[4:5] offset:7680
	ds_store_b64 v37, v[19:20] offset:21120
	ds_load_b64 v[4:5], v14 offset:8640
	ds_load_b64 v[19:20], v37 offset:20160
	v_add_nc_u32_e32 v27, 0x6800, v14
	v_and_b32_e32 v36, 0xffff, v28
	s_delay_alu instid0(VALU_DEP_1)
	v_mul_u32_u24_e32 v36, 0xcccd, v36
	s_wait_dscnt 0x0
	v_add_f32_e32 v9, v4, v19
	v_add_f32_e32 v21, v20, v5
	v_sub_f32_e32 v22, v4, v19
	v_sub_f32_e32 v4, v5, v20
	s_wait_loadcnt 0x5
	s_delay_alu instid0(VALU_DEP_2) | instskip(NEXT) | instid1(VALU_DEP_2)
	v_fma_f32 v23, v22, v26, v9
	v_fma_f32 v5, v21, v26, v4
	v_fma_f32 v19, -v22, v26, v9
	v_fma_f32 v20, v21, v26, -v4
	v_add_nc_u32_e32 v26, 0x5000, v14
	v_fma_f32 v4, -v25, v21, v23
	v_fmac_f32_e32 v5, v22, v25
	v_fmac_f32_e32 v19, v25, v21
	v_fmac_f32_e32 v20, v22, v25
	ds_store_b64 v14, v[4:5] offset:8640
	ds_store_b64 v37, v[19:20] offset:20160
	ds_load_b64 v[4:5], v14 offset:9600
	ds_load_b64 v[19:20], v37 offset:19200
	v_add_nc_u32_e32 v25, 0x2400, v14
	s_wait_dscnt 0x0
	v_add_f32_e32 v9, v4, v19
	v_add_f32_e32 v21, v20, v5
	v_sub_f32_e32 v22, v4, v19
	v_sub_f32_e32 v4, v5, v20
	s_wait_loadcnt 0x4
	s_delay_alu instid0(VALU_DEP_2) | instskip(NEXT) | instid1(VALU_DEP_2)
	v_fma_f32 v23, v22, v7, v9
	v_fma_f32 v5, v21, v7, v4
	v_fma_f32 v19, -v22, v7, v9
	v_fma_f32 v20, v21, v7, -v4
	s_delay_alu instid0(VALU_DEP_4) | instskip(NEXT) | instid1(VALU_DEP_4)
	v_fma_f32 v4, -v6, v21, v23
	v_fmac_f32_e32 v5, v22, v6
	s_delay_alu instid0(VALU_DEP_4) | instskip(NEXT) | instid1(VALU_DEP_4)
	v_fmac_f32_e32 v19, v6, v21
	v_fmac_f32_e32 v20, v22, v6
	v_add_nc_u32_e32 v22, 0x4800, v14
	ds_store_b64 v14, v[4:5] offset:9600
	ds_store_b64 v37, v[19:20] offset:19200
	ds_load_b64 v[4:5], v14 offset:10560
	ds_load_b64 v[6:7], v37 offset:18240
	s_wait_dscnt 0x0
	v_add_f32_e32 v9, v4, v6
	v_dual_add_f32 v19, v7, v5 :: v_dual_sub_f32 v20, v4, v6
	v_sub_f32_e32 v4, v5, v7
	s_wait_loadcnt 0x3
	s_delay_alu instid0(VALU_DEP_2) | instskip(NEXT) | instid1(VALU_DEP_2)
	v_fma_f32 v21, v20, v16, v9
	v_fma_f32 v5, v19, v16, v4
	v_fma_f32 v6, -v20, v16, v9
	v_fma_f32 v7, v19, v16, -v4
	s_delay_alu instid0(VALU_DEP_4) | instskip(NEXT) | instid1(VALU_DEP_4)
	v_fma_f32 v4, -v15, v19, v21
	v_fmac_f32_e32 v5, v20, v15
	s_delay_alu instid0(VALU_DEP_4) | instskip(NEXT) | instid1(VALU_DEP_4)
	v_fmac_f32_e32 v6, v15, v19
	v_fmac_f32_e32 v7, v20, v15
	ds_store_b64 v14, v[4:5] offset:10560
	ds_store_b64 v37, v[6:7] offset:18240
	ds_load_b64 v[4:5], v14 offset:11520
	ds_load_b64 v[6:7], v37 offset:17280
	v_add_nc_u32_e32 v20, 0x400, v14
	s_wait_dscnt 0x0
	v_add_f32_e32 v9, v4, v6
	v_dual_add_f32 v15, v7, v5 :: v_dual_sub_f32 v16, v4, v6
	v_sub_f32_e32 v4, v5, v7
	s_wait_loadcnt 0x2
	s_delay_alu instid0(VALU_DEP_2) | instskip(NEXT) | instid1(VALU_DEP_2)
	v_fma_f32 v19, v16, v18, v9
	v_fma_f32 v5, v15, v18, v4
	v_fma_f32 v6, -v16, v18, v9
	v_fma_f32 v7, v15, v18, -v4
	v_add_nc_u32_e32 v18, 0x3400, v14
	v_fma_f32 v4, -v17, v15, v19
	s_delay_alu instid0(VALU_DEP_4) | instskip(NEXT) | instid1(VALU_DEP_4)
	v_dual_fmac_f32 v5, v16, v17 :: v_dual_fmac_f32 v6, v17, v15
	v_fmac_f32_e32 v7, v16, v17
	ds_store_b64 v14, v[4:5] offset:11520
	ds_store_b64 v37, v[6:7] offset:17280
	ds_load_b64 v[4:5], v14 offset:12480
	ds_load_b64 v[6:7], v37 offset:16320
	v_add_nc_u32_e32 v16, 0x2c00, v14
	s_wait_dscnt 0x0
	v_add_f32_e32 v31, v4, v6
	v_dual_add_f32 v33, v7, v5 :: v_dual_sub_f32 v34, v4, v6
	v_sub_f32_e32 v4, v5, v7
	s_wait_loadcnt 0x1
	s_delay_alu instid0(VALU_DEP_2) | instskip(NEXT) | instid1(VALU_DEP_2)
	v_fma_f32 v5, v34, v3, v31
	v_fma_f32 v6, v33, v3, v4
	v_fma_f32 v31, -v34, v3, v31
	v_fma_f32 v32, v33, v3, -v4
	v_lshl_add_u32 v4, v30, 3, 0
	v_fma_f32 v5, -v2, v33, v5
	v_fmac_f32_e32 v6, v34, v2
	v_fmac_f32_e32 v31, v2, v33
	;; [unrolled: 1-line block ×3, first 2 shown]
	v_add_nc_u32_e32 v38, 0x25b0, v4
	ds_store_b64 v14, v[5:6] offset:12480
	ds_store_b64 v37, v[31:32] offset:16320
	ds_load_b64 v[2:3], v14 offset:13440
	ds_load_b64 v[34:35], v37 offset:15360
	v_and_b32_e32 v7, 0xff, v8
	v_and_b32_e32 v30, 0xff, v29
	v_add_nc_u32_e32 v40, 0x4b00, v4
	v_add_nc_u32_e32 v17, 0x1400, v14
	;; [unrolled: 1-line block ×4, first 2 shown]
	v_mul_lo_u16 v31, 0xcd, v30
	s_wait_dscnt 0x0
	v_add_f32_e32 v47, v2, v34
	v_sub_f32_e32 v34, v2, v34
	v_mul_lo_u16 v33, 0xcd, v7
	v_add_f32_e32 v48, v35, v3
	v_sub_f32_e32 v3, v3, v35
	s_delay_alu instid0(VALU_DEP_3)
	v_lshrrev_b16 v32, 11, v33
	v_lshrrev_b16 v33, 11, v31
	v_lshrrev_b32_e32 v31, 19, v36
	s_wait_loadcnt 0x0
	v_fma_f32 v50, v34, v1, v47
	v_fma_f32 v2, v48, v1, v3
	v_mul_lo_u16 v45, v32, 10
	v_mul_lo_u16 v36, v33, 10
	;; [unrolled: 1-line block ×3, first 2 shown]
	s_delay_alu instid0(VALU_DEP_4) | instskip(NEXT) | instid1(VALU_DEP_4)
	v_dual_fmac_f32 v2, v34, v0 :: v_dual_add_nc_u32 v9, 0x4000, v14
	v_sub_nc_u16 v45, v8, v45
	s_delay_alu instid0(VALU_DEP_4) | instskip(NEXT) | instid1(VALU_DEP_4)
	v_sub_nc_u16 v35, v29, v36
	v_sub_nc_u16 v49, v28, v46
	v_fma_f32 v46, v48, v1, -v3
	v_add_nc_u32_e32 v15, 0x5800, v14
	v_and_b32_e32 v36, 0xff, v45
	v_fma_f32 v45, -v34, v1, v47
	v_fma_f32 v1, -v0, v48, v50
	v_fmac_f32_e32 v46, v34, v0
	v_and_b32_e32 v34, 0xffff, v49
	v_and_b32_e32 v35, 0xff, v35
	v_fmac_f32_e32 v45, v0, v48
	ds_store_b64 v14, v[1:2] offset:13440
	ds_store_b64 v37, v[45:46] offset:15360
	global_wb scope:SCOPE_SE
	s_wait_dscnt 0x0
	s_barrier_signal -1
	s_barrier_wait -1
	global_inv scope:SCOPE_SE
	global_wb scope:SCOPE_SE
	s_barrier_signal -1
	s_barrier_wait -1
	global_inv scope:SCOPE_SE
	ds_load_2addr_b64 v[0:3], v14 offset1:120
	ds_load_2addr_b64 v[45:48], v17 offset0:80 offset1:200
	ds_load_2addr_b64 v[49:52], v16 offset0:32 offset1:152
	;; [unrolled: 1-line block ×4, first 2 shown]
	v_mul_u32_u24_e32 v61, 9, v36
	v_mul_u32_u24_e32 v62, 9, v35
	v_add_nc_u32_e32 v19, 0x1c00, v14
	v_add_nc_u32_e32 v21, 0x6000, v14
	;; [unrolled: 1-line block ×3, first 2 shown]
	v_lshlrev_b32_e32 v37, 3, v61
	v_lshlrev_b32_e32 v118, 3, v62
	v_add_nc_u32_e32 v7, 0x25a0, v4
	v_add_nc_u32_e32 v44, 0x4b40, v4
	;; [unrolled: 1-line block ×5, first 2 shown]
	s_wait_dscnt 0x3
	v_add_f32_e32 v101, v0, v45
	s_wait_dscnt 0x2
	v_sub_f32_e32 v106, v45, v49
	s_wait_dscnt 0x1
	v_sub_f32_e32 v112, v49, v53
	s_wait_dscnt 0x0
	v_add_f32_e32 v108, v45, v57
	ds_load_2addr_b64 v[61:64], v20 offset0:112 offset1:232
	ds_load_2addr_b64 v[65:68], v19 offset0:64 offset1:184
	;; [unrolled: 1-line block ×10, first 2 shown]
	v_dual_add_f32 v110, v1, v46 :: v_dual_add_f32 v133, v3, v48
	v_add_nc_u32_e32 v43, 0x4b30, v4
	v_dual_add_f32 v103, v49, v53 :: v_dual_sub_f32 v104, v46, v58
	v_sub_f32_e32 v105, v50, v54
	v_dual_sub_f32 v107, v57, v53 :: v_dual_add_f32 v128, v51, v55
	v_dual_sub_f32 v109, v49, v45 :: v_dual_sub_f32 v130, v52, v56
	v_dual_add_f32 v111, v50, v54 :: v_dual_sub_f32 v132, v51, v47
	s_wait_dscnt 0x8
	v_dual_add_f32 v115, v63, v67 :: v_dual_add_f32 v122, v64, v68
	s_wait_dscnt 0x6
	v_dual_add_f32 v123, v72, v76 :: v_dual_add_f32 v144, v62, v66
	v_dual_sub_f32 v45, v45, v57 :: v_dual_add_f32 v134, v52, v56
	v_dual_sub_f32 v113, v46, v50 :: v_dual_sub_f32 v136, v48, v52
	v_add_f32_e32 v114, v46, v58
	v_sub_f32_e32 v46, v50, v46
	v_dual_add_f32 v116, v71, v75 :: v_dual_sub_f32 v119, v72, v76
	v_add_f32_e32 v140, v69, v73
	v_sub_f32_e32 v120, v67, v71
	v_dual_sub_f32 v121, v71, v67 :: v_dual_sub_f32 v142, v65, v69
	v_dual_sub_f32 v124, v71, v75 :: v_dual_sub_f32 v125, v68, v72
	v_sub_f32_e32 v146, v69, v73
	v_sub_f32_e32 v126, v72, v68
	v_dual_sub_f32 v129, v48, v60 :: v_dual_sub_f32 v148, v70, v66
	s_wait_dscnt 0x5
	v_dual_sub_f32 v131, v47, v51 :: v_dual_sub_f32 v150, v66, v78
	s_wait_dscnt 0x3
	v_dual_sub_f32 v135, v51, v55 :: v_dual_add_f32 v152, v81, v85
	v_dual_sub_f32 v137, v52, v48 :: v_dual_add_f32 v154, v83, v87
	v_dual_add_f32 v48, v48, v60 :: v_dual_add_f32 v139, v61, v65
	s_wait_dscnt 0x1
	v_add_f32_e32 v160, v90, v94
	v_dual_sub_f32 v141, v70, v74 :: v_dual_sub_f32 v158, v85, v89
	v_dual_sub_f32 v143, v69, v65 :: v_dual_sub_f32 v162, v86, v90
	v_dual_add_f32 v145, v70, v74 :: v_dual_add_f32 v164, v91, v95
	v_dual_sub_f32 v147, v66, v70 :: v_dual_sub_f32 v166, v87, v91
	v_dual_add_f32 v149, v67, v79 :: v_dual_add_f32 v50, v110, v50
	v_dual_add_f32 v151, v65, v77 :: v_dual_add_f32 v110, v92, v96
	v_dual_sub_f32 v65, v65, v77 :: v_dual_add_f32 v72, v122, v72
	v_dual_add_f32 v66, v66, v78 :: v_dual_sub_f32 v67, v67, v79
	v_add_f32_e32 v52, v133, v52
	s_wait_dscnt 0x0
	v_dual_add_f32 v155, v84, v88 :: v_dual_sub_f32 v122, v86, v98
	v_add_f32_e32 v153, v82, v86
	v_sub_f32_e32 v157, v90, v94
	v_dual_sub_f32 v159, v89, v85 :: v_dual_add_f32 v70, v144, v70
	v_add_f32_e32 v49, v101, v49
	v_dual_sub_f32 v133, v88, v92 :: v_dual_add_f32 v106, v106, v107
	v_add_f32_e32 v71, v115, v71
	v_sub_f32_e32 v115, v92, v88
	v_sub_f32_e32 v144, v88, v100
	v_add_f32_e32 v88, v88, v100
	v_dual_sub_f32 v117, v68, v80 :: v_dual_add_f32 v138, v47, v59
	v_dual_add_f32 v127, v2, v47 :: v_dual_add_f32 v68, v68, v80
	v_dual_sub_f32 v47, v47, v59 :: v_dual_add_f32 v156, v89, v93
	v_sub_f32_e32 v161, v89, v93
	v_sub_f32_e32 v163, v90, v86
	;; [unrolled: 1-line block ×3, first 2 shown]
	v_dual_add_f32 v89, v152, v89 :: v_dual_add_f32 v92, v155, v92
	v_add_f32_e32 v90, v153, v90
	v_sub_f32_e32 v153, v53, v57
	v_sub_f32_e32 v155, v54, v58
	v_fma_f32 v110, -0.5, v110, v84
	v_fmac_f32_e32 v84, -0.5, v88
	v_fma_f32 v134, -0.5, v134, v3
	v_dual_fmac_f32 v3, -0.5, v48 :: v_dual_sub_f32 v48, v94, v98
	v_add_f32_e32 v152, v87, v99
	v_fma_f32 v145, -0.5, v145, v62
	v_fmac_f32_e32 v62, -0.5, v66
	v_sub_f32_e32 v66, v73, v77
	v_dual_add_f32 v69, v139, v69 :: v_dual_add_f32 v46, v46, v155
	v_sub_f32_e32 v155, v80, v76
	v_fma_f32 v108, -0.5, v108, v0
	s_delay_alu instid0(VALU_DEP_4)
	v_add_f32_e32 v66, v143, v66
	v_add_f32_e32 v163, v163, v48
	v_dual_sub_f32 v48, v95, v99 :: v_dual_add_f32 v109, v109, v153
	v_sub_f32_e32 v153, v79, v75
	v_sub_f32_e32 v101, v91, v87
	;; [unrolled: 1-line block ×3, first 2 shown]
	v_add_f32_e32 v51, v127, v51
	v_add_f32_e32 v139, v85, v97
	v_dual_sub_f32 v85, v85, v97 :: v_dual_sub_f32 v88, v56, v60
	v_dual_sub_f32 v107, v59, v55 :: v_dual_add_f32 v120, v120, v153
	v_sub_f32_e32 v153, v76, v80
	v_sub_f32_e32 v127, v91, v95
	s_delay_alu instid0(VALU_DEP_4) | instskip(SKIP_4) | instid1(VALU_DEP_4)
	v_dual_add_f32 v91, v154, v91 :: v_dual_add_f32 v88, v137, v88
	v_dual_sub_f32 v154, v58, v54 :: v_dual_add_f32 v101, v101, v48
	v_sub_f32_e32 v48, v97, v93
	v_add_f32_e32 v125, v125, v155
	v_sub_f32_e32 v155, v96, v100
	v_dual_add_f32 v113, v113, v154 :: v_dual_sub_f32 v154, v75, v79
	s_delay_alu instid0(VALU_DEP_4) | instskip(SKIP_1) | instid1(VALU_DEP_4)
	v_add_f32_e32 v158, v158, v48
	v_add_f32_e32 v48, v51, v55
	;; [unrolled: 1-line block ×3, first 2 shown]
	v_sub_f32_e32 v155, v93, v97
	v_sub_f32_e32 v137, v77, v73
	v_fma_f32 v114, -0.5, v114, v1
	v_fma_f32 v68, -0.5, v68, v64
	;; [unrolled: 1-line block ×3, first 2 shown]
	v_add_f32_e32 v155, v159, v155
	v_sub_f32_e32 v159, v74, v78
	v_add_f32_e32 v137, v142, v137
	v_fma_f32 v111, -0.5, v111, v1
	v_dual_add_f32 v1, v50, v54 :: v_dual_add_f32 v50, v71, v75
	s_delay_alu instid0(VALU_DEP_4)
	v_dual_add_f32 v148, v148, v159 :: v_dual_sub_f32 v159, v78, v74
	v_fmamk_f32 v71, v112, 0xbf737871, v114
	v_fmac_f32_e32 v114, 0x3f737871, v112
	v_add_f32_e32 v86, v86, v98
	v_fma_f32 v103, -0.5, v103, v0
	v_add_f32_e32 v142, v147, v159
	v_dual_add_f32 v126, v126, v153 :: v_dual_sub_f32 v153, v60, v56
	v_add_f32_e32 v0, v49, v53
	v_add_f32_e32 v121, v121, v154
	v_fma_f32 v147, -0.5, v149, v63
	v_fma_f32 v63, -0.5, v116, v63
	v_add_f32_e32 v136, v136, v153
	v_dual_sub_f32 v153, v100, v96 :: v_dual_sub_f32 v154, v55, v59
	v_fma_f32 v123, -0.5, v156, v81
	v_fma_f32 v81, -0.5, v139, v81
	v_fma_f32 v128, -0.5, v128, v2
	v_fma_f32 v2, -0.5, v138, v2
	v_add_f32_e32 v49, v52, v56
	v_dual_add_f32 v51, v72, v76 :: v_dual_add_f32 v52, v69, v73
	v_dual_add_f32 v54, v89, v93 :: v_dual_add_f32 v69, v92, v96
	v_fmamk_f32 v76, v117, 0xbf737871, v63
	v_add_f32_e32 v116, v133, v153
	v_fma_f32 v133, -0.5, v160, v82
	v_fma_f32 v82, -0.5, v86, v82
	v_add_f32_e32 v53, v70, v74
	v_add_f32_e32 v107, v131, v107
	v_dual_sub_f32 v131, v98, v94 :: v_dual_fmamk_f32 v74, v104, 0xbf737871, v103
	v_add_f32_e32 v132, v132, v154
	v_dual_sub_f32 v154, v99, v95 :: v_dual_add_f32 v55, v90, v94
	v_add_f32_e32 v56, v91, v95
	v_fmamk_f32 v70, v105, 0x3f737871, v108
	v_fmac_f32_e32 v108, 0xbf737871, v105
	v_fmamk_f32 v72, v119, 0x3f737871, v147
	v_fmamk_f32 v94, v122, 0xbf737871, v123
	v_fmac_f32_e32 v123, 0x3f737871, v122
	v_fmamk_f32 v95, v157, 0x3f737871, v81
	v_fmac_f32_e32 v81, 0xbf737871, v157
	v_dual_fmamk_f32 v96, v85, 0x3f737871, v133 :: v_dual_fmamk_f32 v91, v130, 0x3f737871, v2
	v_add_f32_e32 v78, v53, v78
	v_fmac_f32_e32 v2, 0xbf737871, v130
	v_dual_fmamk_f32 v73, v124, 0xbf737871, v68 :: v_dual_add_f32 v60, v49, v60
	v_fmac_f32_e32 v68, 0x3f737871, v124
	v_fmamk_f32 v139, v161, 0xbf737871, v82
	v_dual_fmac_f32 v82, 0x3f737871, v161 :: v_dual_add_f32 v59, v48, v59
	v_fmac_f32_e32 v108, 0x3f167918, v104
	v_add_f32_e32 v48, v50, v79
	v_add_f32_e32 v50, v54, v97
	;; [unrolled: 1-line block ×3, first 2 shown]
	v_fma_f32 v86, -0.5, v164, v83
	v_fma_f32 v83, -0.5, v152, v83
	;; [unrolled: 1-line block ×4, first 2 shown]
	v_fmac_f32_e32 v147, 0xbf737871, v119
	v_fmamk_f32 v75, v45, 0x3f737871, v111
	v_dual_fmac_f32 v111, 0xbf737871, v45 :: v_dual_fmamk_f32 v152, v146, 0xbf737871, v62
	v_fmamk_f32 v89, v67, 0x3f737871, v64
	v_fmamk_f32 v92, v47, 0x3f737871, v134
	v_fmac_f32_e32 v134, 0xbf737871, v47
	v_dual_fmac_f32 v62, 0x3f737871, v146 :: v_dual_add_f32 v49, v51, v80
	v_fmac_f32_e32 v114, 0xbf167918, v45
	v_dual_add_f32 v77, v52, v77 :: v_dual_fmac_f32 v68, 0xbf167918, v67
	v_dual_add_f32 v51, v55, v98 :: v_dual_fmac_f32 v72, 0xbf167918, v117
	v_fmamk_f32 v151, v65, 0x3f737871, v145
	v_dual_fmac_f32 v145, 0xbf737871, v65 :: v_dual_add_f32 v52, v78, v54
	v_dual_fmac_f32 v73, 0x3f167918, v67 :: v_dual_fmac_f32 v2, 0x3f167918, v129
	s_delay_alu instid0(VALU_DEP_2)
	v_dual_fmac_f32 v82, 0xbf167918, v85 :: v_dual_fmac_f32 v145, 0xbf167918, v146
	v_dual_add_f32 v131, v162, v131 :: v_dual_fmamk_f32 v90, v129, 0xbf737871, v128
	v_dual_add_f32 v143, v166, v154 :: v_dual_fmac_f32 v128, 0x3f737871, v129
	v_dual_fmac_f32 v64, 0xbf737871, v67 :: v_dual_fmamk_f32 v93, v135, 0xbf737871, v3
	v_dual_fmac_f32 v3, 0x3f737871, v135 :: v_dual_fmamk_f32 v156, v87, 0x3f737871, v110
	v_dual_fmamk_f32 v140, v150, 0xbf737871, v138 :: v_dual_add_f32 v57, v0, v57
	v_fmac_f32_e32 v70, 0xbf167918, v104
	v_dual_add_f32 v58, v1, v58 :: v_dual_fmamk_f32 v153, v144, 0xbf737871, v86
	v_sub_f32_e32 v54, v78, v54
	v_fmamk_f32 v154, v165, 0x3f737871, v83
	v_fmac_f32_e32 v110, 0xbf737871, v87
	v_dual_add_f32 v53, v56, v99 :: v_dual_fmac_f32 v64, 0xbf167918, v124
	v_dual_fmac_f32 v71, 0x3f167918, v45 :: v_dual_fmac_f32 v128, 0x3f167918, v130
	v_dual_fmac_f32 v147, 0x3f167918, v117 :: v_dual_fmac_f32 v92, 0x3f167918, v135
	;; [unrolled: 1-line block ×3, first 2 shown]
	v_fmac_f32_e32 v62, 0xbf167918, v65
	v_dual_fmac_f32 v108, 0x3e9e377a, v109 :: v_dual_fmac_f32 v73, 0x3e9e377a, v126
	s_delay_alu instid0(VALU_DEP_3)
	v_dual_fmac_f32 v68, 0x3e9e377a, v126 :: v_dual_fmac_f32 v89, 0x3e9e377a, v125
	v_fmac_f32_e32 v82, 0x3e9e377a, v163
	v_fmamk_f32 v79, v127, 0xbf737871, v84
	v_dual_fmac_f32 v84, 0x3f737871, v127 :: v_dual_fmac_f32 v103, 0x3f737871, v104
	v_dual_fmac_f32 v138, 0x3f737871, v150 :: v_dual_fmac_f32 v63, 0x3f737871, v117
	v_fmac_f32_e32 v86, 0x3f737871, v144
	v_dual_fmac_f32 v133, 0xbf737871, v85 :: v_dual_add_f32 v0, v57, v48
	v_fmamk_f32 v149, v141, 0x3f737871, v61
	v_fmac_f32_e32 v61, 0xbf737871, v141
	v_dual_fmac_f32 v76, 0xbf167918, v119 :: v_dual_fmac_f32 v91, 0xbf167918, v129
	v_dual_fmac_f32 v90, 0xbf167918, v130 :: v_dual_fmac_f32 v3, 0xbf167918, v47
	;; [unrolled: 1-line block ×3, first 2 shown]
	v_dual_fmac_f32 v140, 0xbf167918, v141 :: v_dual_sub_f32 v45, v57, v48
	v_dual_fmac_f32 v153, 0xbf167918, v165 :: v_dual_fmac_f32 v110, 0xbf167918, v127
	v_dual_fmac_f32 v84, 0xbf167918, v87 :: v_dual_add_f32 v1, v58, v49
	v_dual_fmac_f32 v70, 0x3e9e377a, v109 :: v_dual_fmac_f32 v71, 0x3e9e377a, v46
	v_dual_fmac_f32 v114, 0x3e9e377a, v46 :: v_dual_fmac_f32 v147, 0x3e9e377a, v121
	v_dual_fmac_f32 v72, 0x3e9e377a, v121 :: v_dual_fmac_f32 v3, 0x3e9e377a, v88
	v_dual_sub_f32 v46, v58, v49 :: v_dual_add_f32 v47, v59, v50
	v_fmac_f32_e32 v62, 0x3e9e377a, v148
	v_dual_add_f32 v48, v60, v51 :: v_dual_sub_f32 v49, v59, v50
	v_dual_sub_f32 v50, v60, v51 :: v_dual_add_f32 v51, v77, v53
	v_dual_sub_f32 v53, v77, v53 :: v_dual_fmac_f32 v90, 0x3e9e377a, v107
	v_mul_f32_e32 v77, 0xbf737871, v73
	v_mul_f32_e32 v73, 0x3e9e377a, v73
	;; [unrolled: 1-line block ×3, first 2 shown]
	v_dual_fmac_f32 v83, 0xbf737871, v165 :: v_dual_mul_f32 v78, 0xbf737871, v68
	v_dual_fmac_f32 v74, 0xbf167918, v105 :: v_dual_fmac_f32 v111, 0xbf167918, v112
	v_dual_fmac_f32 v103, 0x3f167918, v105 :: v_dual_fmac_f32 v156, 0x3f167918, v127
	;; [unrolled: 1-line block ×4, first 2 shown]
	s_delay_alu instid0(VALU_DEP_2)
	v_dual_fmac_f32 v76, 0x3e9e377a, v120 :: v_dual_fmac_f32 v75, 0x3e9e377a, v113
	v_dual_fmac_f32 v153, 0x3e9e377a, v143 :: v_dual_fmac_f32 v110, 0x3e9e377a, v116
	v_fmac_f32_e32 v81, 0x3f167918, v122
	v_mul_f32_e32 v65, 0xbe9e377a, v82
	v_dual_fmac_f32 v73, 0x3f737871, v72 :: v_dual_fmac_f32 v80, 0x3f737871, v147
	v_fmac_f32_e32 v151, 0x3f167918, v146
	v_dual_fmac_f32 v134, 0xbf167918, v135 :: v_dual_fmac_f32 v95, 0xbf167918, v122
	v_fmac_f32_e32 v156, 0x3e9e377a, v116
	v_mul_f32_e32 v104, 0x3f167918, v153
	v_dual_fmac_f32 v74, 0x3e9e377a, v106 :: v_dual_fmac_f32 v81, 0x3e9e377a, v155
	v_fmac_f32_e32 v78, 0xbe9e377a, v147
	v_dual_mul_f32 v69, 0x3f167918, v76 :: v_dual_add_f32 v58, v71, v73
	v_fmac_f32_e32 v151, 0x3e9e377a, v142
	v_dual_fmac_f32 v94, 0xbf167918, v157 :: v_dual_fmac_f32 v149, 0xbf167918, v150
	v_dual_fmac_f32 v92, 0x3e9e377a, v136 :: v_dual_fmac_f32 v95, 0x3e9e377a, v155
	v_fmac_f32_e32 v77, 0x3e9e377a, v72
	v_fmac_f32_e32 v104, 0x3f4f1bbd, v156
	v_dual_sub_f32 v72, v108, v78 :: v_dual_fmac_f32 v69, 0x3f4f1bbd, v89
	v_fmac_f32_e32 v61, 0x3f167918, v150
	v_dual_fmac_f32 v91, 0x3e9e377a, v132 :: v_dual_fmac_f32 v96, 0x3e9e377a, v131
	v_dual_fmac_f32 v149, 0x3e9e377a, v66 :: v_dual_fmac_f32 v152, 0x3e9e377a, v148
	s_delay_alu instid0(VALU_DEP_3) | instskip(SKIP_4) | instid1(VALU_DEP_3)
	v_dual_add_f32 v56, v75, v69 :: v_dual_fmac_f32 v61, 0x3e9e377a, v66
	v_fmac_f32_e32 v86, 0x3e9e377a, v143
	v_mul_f32_e32 v66, 0xbf167918, v89
	v_dual_fmac_f32 v63, 0x3e9e377a, v120 :: v_dual_fmac_f32 v94, 0x3e9e377a, v158
	v_dual_fmac_f32 v133, 0xbf167918, v161 :: v_dual_fmac_f32 v154, 0xbf167918, v144
	v_fmac_f32_e32 v66, 0x3f4f1bbd, v76
	v_fmac_f32_e32 v83, 0x3f167918, v144
	v_dual_fmac_f32 v64, 0x3e9e377a, v125 :: v_dual_fmac_f32 v103, 0x3e9e377a, v106
	v_mul_f32_e32 v82, 0xbf737871, v82
	s_delay_alu instid0(VALU_DEP_4) | instskip(NEXT) | instid1(VALU_DEP_4)
	v_sub_f32_e32 v68, v74, v66
	v_dual_fmac_f32 v84, 0x3e9e377a, v115 :: v_dual_fmac_f32 v83, 0x3e9e377a, v101
	v_dual_fmac_f32 v134, 0x3e9e377a, v136 :: v_dual_fmac_f32 v133, 0x3e9e377a, v131
	v_mul_f32_e32 v109, 0xbf4f1bbd, v110
	s_delay_alu instid0(VALU_DEP_3) | instskip(SKIP_1) | instid1(VALU_DEP_4)
	v_dual_mul_f32 v67, 0xbe9e377a, v84 :: v_dual_fmac_f32 v82, 0xbe9e377a, v81
	v_mul_f32_e32 v97, 0xbf737871, v84
	v_dual_mul_f32 v84, 0xbf167918, v64 :: v_dual_mul_f32 v99, 0xbf167918, v133
	v_mul_f32_e32 v64, 0xbf4f1bbd, v64
	v_fmac_f32_e32 v123, 0x3f167918, v157
	v_dual_fmac_f32 v79, 0x3f167918, v87 :: v_dual_add_f32 v60, v114, v80
	v_dual_fmac_f32 v93, 0x3e9e377a, v88 :: v_dual_fmac_f32 v140, 0x3e9e377a, v137
	s_delay_alu instid0(VALU_DEP_4) | instskip(NEXT) | instid1(VALU_DEP_4)
	v_fmac_f32_e32 v64, 0x3f167918, v63
	v_dual_fmac_f32 v2, 0x3e9e377a, v132 :: v_dual_fmac_f32 v123, 0x3e9e377a, v158
	v_mul_f32_e32 v100, 0xbf4f1bbd, v133
	v_fmac_f32_e32 v138, 0x3e9e377a, v137
	v_dual_fmac_f32 v111, 0x3e9e377a, v113 :: v_dual_fmac_f32 v128, 0x3e9e377a, v107
	s_delay_alu instid0(VALU_DEP_4) | instskip(NEXT) | instid1(VALU_DEP_4)
	v_fmac_f32_e32 v99, 0xbf4f1bbd, v123
	v_dual_fmac_f32 v139, 0x3f167918, v85 :: v_dual_fmac_f32 v100, 0x3f167918, v123
	v_mul_f32_e32 v85, 0xbf167918, v96
	v_dual_fmac_f32 v145, 0x3e9e377a, v142 :: v_dual_fmac_f32 v154, 0x3e9e377a, v101
	s_delay_alu instid0(VALU_DEP_3) | instskip(SKIP_1) | instid1(VALU_DEP_4)
	v_fmac_f32_e32 v139, 0x3e9e377a, v163
	v_mul_f32_e32 v101, 0xbf167918, v156
	v_fmac_f32_e32 v85, 0x3f4f1bbd, v94
	v_mul_f32_e32 v107, 0xbf167918, v110
	s_delay_alu instid0(VALU_DEP_4) | instskip(NEXT) | instid1(VALU_DEP_3)
	v_dual_add_f32 v55, v74, v66 :: v_dual_mul_f32 v88, 0xbf737871, v139
	v_dual_add_f32 v59, v108, v78 :: v_dual_add_f32 v78, v90, v85
	s_delay_alu instid0(VALU_DEP_3) | instskip(NEXT) | instid1(VALU_DEP_3)
	v_dual_fmac_f32 v84, 0xbf4f1bbd, v63 :: v_dual_fmac_f32 v107, 0xbf4f1bbd, v86
	v_fmac_f32_e32 v88, 0x3e9e377a, v95
	v_fmac_f32_e32 v79, 0x3e9e377a, v115
	v_add_f32_e32 v57, v70, v77
	v_dual_sub_f32 v70, v70, v77 :: v_dual_mul_f32 v87, 0x3f167918, v94
	s_delay_alu instid0(VALU_DEP_3)
	v_dual_add_f32 v74, v103, v84 :: v_dual_mul_f32 v105, 0xbf737871, v79
	v_sub_f32_e32 v76, v103, v84
	v_mul_f32_e32 v98, 0x3e9e377a, v139
	v_mul_f32_e32 v106, 0x3e9e377a, v79
	v_fmac_f32_e32 v65, 0x3f737871, v81
	v_fmac_f32_e32 v105, 0x3e9e377a, v154
	;; [unrolled: 1-line block ×6, first 2 shown]
	v_dual_fmac_f32 v109, 0x3f167918, v86 :: v_dual_add_f32 v86, v128, v99
	v_add_f32_e32 v63, v3, v65
	v_sub_f32_e32 v3, v3, v65
	v_add_f32_e32 v65, v62, v67
	v_sub_f32_e32 v67, v62, v67
	v_dual_add_f32 v62, v2, v82 :: v_dual_fmac_f32 v97, 0xbe9e377a, v83
	v_sub_f32_e32 v84, v91, v88
	v_dual_sub_f32 v2, v2, v82 :: v_dual_fmac_f32 v101, 0x3f4f1bbd, v153
	v_add_f32_e32 v82, v91, v88
	v_mul_u32_u24_e32 v102, 9, v34
	v_sub_f32_e32 v69, v75, v69
	v_dual_add_f32 v75, v111, v64 :: v_dual_add_f32 v94, v149, v105
	v_sub_f32_e32 v71, v71, v73
	v_sub_f32_e32 v73, v114, v80
	v_dual_sub_f32 v77, v111, v64 :: v_dual_sub_f32 v96, v149, v105
	global_wb scope:SCOPE_SE
	s_barrier_signal -1
	s_barrier_wait -1
	global_inv scope:SCOPE_SE
	v_dual_sub_f32 v80, v90, v85 :: v_dual_add_f32 v79, v92, v87
	v_sub_f32_e32 v81, v92, v87
	v_add_f32_e32 v83, v93, v98
	v_sub_f32_e32 v85, v93, v98
	v_dual_add_f32 v87, v134, v100 :: v_dual_sub_f32 v88, v128, v99
	v_dual_sub_f32 v89, v134, v100 :: v_dual_add_f32 v64, v61, v97
	v_sub_f32_e32 v66, v61, v97
	v_dual_add_f32 v90, v140, v101 :: v_dual_add_f32 v91, v151, v104
	v_dual_sub_f32 v92, v140, v101 :: v_dual_sub_f32 v93, v151, v104
	v_add_f32_e32 v95, v152, v106
	v_dual_sub_f32 v97, v152, v106 :: v_dual_add_f32 v98, v138, v107
	v_dual_add_f32 v99, v145, v109 :: v_dual_sub_f32 v100, v138, v107
	v_sub_f32_e32 v101, v145, v109
	ds_store_2addr_b64 v4, v[0:1], v[55:56] offset1:1
	ds_store_2addr_b64 v4, v[57:58], v[59:60] offset0:2 offset1:3
	ds_store_2addr_b64 v4, v[74:75], v[45:46] offset0:4 offset1:5
	;; [unrolled: 1-line block ×4, first 2 shown]
	ds_store_2addr_b64 v5, v[47:48], v[78:79] offset1:1
	ds_store_2addr_b64 v6, v[82:83], v[62:63] offset1:1
	;; [unrolled: 1-line block ×10, first 2 shown]
	global_wb scope:SCOPE_SE
	s_wait_dscnt 0x0
	s_barrier_signal -1
	s_barrier_wait -1
	global_inv scope:SCOPE_SE
	global_load_b128 v[50:53], v37, s[8:9] offset:16
	v_lshlrev_b32_e32 v0, 3, v102
	s_clause 0xd
	global_load_b128 v[38:41], v118, s[8:9] offset:16
	global_load_b128 v[44:47], v0, s[8:9] offset:16
	;; [unrolled: 1-line block ×8, first 2 shown]
	global_load_b64 v[158:159], v37, s[8:9] offset:64
	global_load_b128 v[106:109], v0, s[8:9]
	global_load_b128 v[110:113], v118, s[8:9]
	global_load_b128 v[114:117], v37, s[8:9]
	global_load_b64 v[160:161], v118, s[8:9] offset:64
	global_load_b64 v[162:163], v0, s[8:9] offset:64
	ds_load_2addr_b64 v[58:61], v16 offset0:32 offset1:152
	ds_load_2addr_b64 v[76:79], v25 offset0:48 offset1:168
	;; [unrolled: 1-line block ×14, first 2 shown]
	ds_load_2addr_b64 v[4:7], v14 offset1:120
	v_lshlrev_b32_e32 v35, 3, v35
	global_wb scope:SCOPE_SE
	s_wait_loadcnt_dscnt 0x0
	s_barrier_signal -1
	s_barrier_wait -1
	global_inv scope:SCOPE_SE
	v_mul_f32_e32 v70, v61, v41
	v_dual_mul_f32 v41, v60, v41 :: v_dual_mul_f32 v84, v77, v39
	v_mul_f32_e32 v49, v76, v39
	v_mul_f32_e32 v68, v83, v55
	v_dual_mul_f32 v65, v119, v57 :: v_dual_mul_f32 v64, v121, v88
	v_mul_f32_e32 v57, v118, v57
	v_mul_f32_e32 v48, v58, v53
	v_dual_mul_f32 v66, v59, v53 :: v_dual_mul_f32 v53, v82, v55
	v_dual_mul_f32 v63, v122, v86 :: v_dual_mul_f32 v42, v81, v47
	s_delay_alu instid0(VALU_DEP_3)
	v_fma_f32 v74, v59, v52, -v48
	v_dual_mul_f32 v48, v130, v97 :: v_dual_mul_f32 v47, v80, v47
	v_fmac_f32_e32 v68, v82, v54
	v_dual_mul_f32 v62, v120, v88 :: v_dual_mul_f32 v71, v126, v93
	v_fmac_f32_e32 v66, v58, v52
	v_mul_f32_e32 v58, v131, v97
	v_fmac_f32_e32 v84, v76, v38
	v_fma_f32 v89, v77, v38, -v49
	v_mul_f32_e32 v72, v135, v99
	v_fma_f32 v73, v61, v40, -v41
	v_mul_f32_e32 v38, v149, v107
	v_mul_f32_e32 v88, v153, v113
	v_fma_f32 v77, v83, v54, -v53
	v_mul_f32_e32 v82, v151, v117
	v_fmac_f32_e32 v64, v120, v87
	v_fma_f32 v76, v119, v56, -v57
	v_fma_f32 v83, v123, v85, -v63
	v_dual_fmac_f32 v65, v118, v56 :: v_dual_mul_f32 v56, v115, v3
	v_mul_f32_e32 v41, v137, v103
	v_fma_f32 v63, v131, v96, -v48
	v_mul_f32_e32 v37, v79, v45
	v_dual_mul_f32 v45, v78, v45 :: v_dual_fmac_f32 v42, v80, v46
	v_mul_f32_e32 v75, v123, v86
	v_dual_mul_f32 v69, v129, v95 :: v_dual_fmac_f32 v38, v148, v106
	v_dual_mul_f32 v86, v128, v95 :: v_dual_mul_f32 v59, v133, v101
	v_fmac_f32_e32 v88, v152, v112
	v_dual_mul_f32 v95, v136, v103 :: v_dual_fmac_f32 v56, v114, v2
	v_dual_fmac_f32 v41, v136, v102 :: v_dual_sub_f32 v136, v63, v76
	v_mul_f32_e32 v61, v155, v161
	v_dual_mul_f32 v39, v125, v91 :: v_dual_fmac_f32 v58, v130, v96
	v_dual_mul_f32 v67, v124, v91 :: v_dual_fmac_f32 v72, v134, v98
	v_fmac_f32_e32 v70, v60, v40
	v_dual_mul_f32 v91, v132, v101 :: v_dual_fmac_f32 v82, v150, v116
	v_fma_f32 v40, v79, v44, -v45
	v_mul_f32_e32 v101, v144, v51
	v_mul_f32_e32 v103, v142, v109
	v_fmac_f32_e32 v59, v132, v100
	v_fmac_f32_e32 v61, v154, v160
	v_mul_f32_e32 v79, v145, v51
	v_mul_f32_e32 v51, v143, v109
	v_dual_mul_f32 v109, v152, v113 :: v_dual_add_f32 v118, v6, v88
	v_dual_mul_f32 v60, v141, v159 :: v_dual_mul_f32 v43, v127, v93
	v_fma_f32 v80, v129, v94, -v86
	s_delay_alu instid0(VALU_DEP_3)
	v_fma_f32 v86, v153, v112, -v109
	v_dual_fmac_f32 v37, v78, v44 :: v_dual_mul_f32 v44, v157, v163
	v_mul_f32_e32 v93, v134, v99
	v_fma_f32 v46, v81, v46, -v47
	v_mul_f32_e32 v55, v147, v111
	v_fma_f32 v52, v127, v92, -v71
	v_fmac_f32_e32 v44, v156, v162
	v_fma_f32 v81, v135, v98, -v93
	v_add_f32_e32 v98, v7, v86
	v_fma_f32 v47, v137, v102, -v95
	v_fmac_f32_e32 v75, v122, v85
	v_mul_f32_e32 v97, v138, v105
	v_mul_f32_e32 v49, v139, v105
	v_mul_f32_e32 v105, v148, v107
	v_mul_f32_e32 v107, v146, v111
	v_fma_f32 v54, v143, v108, -v103
	v_fma_f32 v53, v139, v104, -v97
	v_mul_f32_e32 v115, v115, v2
	v_dual_sub_f32 v102, v73, v86 :: v_dual_mul_f32 v111, v150, v117
	s_delay_alu instid0(VALU_DEP_3) | instskip(SKIP_1) | instid1(VALU_DEP_4)
	v_dual_mul_f32 v117, v156, v163 :: v_dual_add_f32 v120, v54, v53
	v_sub_f32_e32 v122, v52, v53
	v_fma_f32 v2, v114, v3, -v115
	v_add_f32_e32 v114, v83, v81
	v_fma_f32 v85, v145, v50, -v101
	v_fmac_f32_e32 v69, v128, v94
	v_dual_sub_f32 v94, v84, v61 :: v_dual_fmac_f32 v55, v146, v110
	v_mul_f32_e32 v99, v140, v159
	v_fma_f32 v78, v121, v87, -v62
	v_fma_f32 v45, v125, v90, -v67
	;; [unrolled: 1-line block ×3, first 2 shown]
	v_add_f32_e32 v100, v55, v84
	v_fma_f32 v67, v141, v158, -v99
	v_sub_f32_e32 v146, v76, v63
	v_sub_f32_e32 v112, v72, v61
	v_fmac_f32_e32 v79, v144, v50
	v_fma_f32 v50, v157, v162, -v117
	v_mul_f32_e32 v113, v154, v161
	v_dual_fmac_f32 v39, v124, v90 :: v_dual_add_f32 v96, v38, v37
	v_fmac_f32_e32 v60, v140, v158
	v_add_f32_e32 v124, v37, v44
	v_fma_f32 v87, v151, v116, -v111
	v_sub_f32_e32 v116, v83, v89
	v_fma_f32 v57, v147, v110, -v107
	v_add_f32_e32 v128, v40, v50
	v_fma_f32 v71, v155, v160, -v113
	v_dual_add_f32 v101, v86, v62 :: v_dual_add_f32 v150, v85, v67
	s_delay_alu instid0(VALU_DEP_4) | instskip(NEXT) | instid1(VALU_DEP_3)
	v_add_f32_e32 v110, v57, v89
	v_dual_sub_f32 v90, v83, v81 :: v_dual_sub_f32 v117, v81, v71
	v_dual_add_f32 v160, v4, v82 :: v_dual_add_f32 v123, v39, v41
	v_sub_f32_e32 v130, v47, v50
	v_add_f32_e32 v132, v2, v85
	v_fmac_f32_e32 v43, v126, v92
	v_sub_f32_e32 v134, v58, v65
	v_dual_sub_f32 v92, v88, v59 :: v_dual_fmac_f32 v51, v142, v108
	v_dual_sub_f32 v140, v67, v80 :: v_dual_add_f32 v99, v73, v78
	v_add_f32_e32 v148, v79, v60
	v_sub_f32_e32 v135, v87, v74
	v_dual_add_f32 v141, v68, v69 :: v_dual_add_f32 v142, v77, v80
	v_fma_f32 v48, v149, v106, -v105
	v_dual_sub_f32 v111, v75, v84 :: v_dual_sub_f32 v154, v64, v59
	v_dual_add_f32 v115, v89, v71 :: v_dual_sub_f32 v158, v62, v78
	v_add_f32_e32 v105, v66, v65
	v_add_f32_e32 v106, v82, v58
	v_dual_add_f32 v107, v74, v76 :: v_dual_add_f32 v162, v5, v87
	v_sub_f32_e32 v3, v70, v64
	v_dual_sub_f32 v91, v75, v72 :: v_dual_sub_f32 v164, v66, v65
	v_dual_sub_f32 v93, v89, v71 :: v_dual_add_f32 v116, v116, v117
	v_add_f32_e32 v113, v70, v64
	v_add_f32_e32 v131, v56, v79
	v_sub_f32_e32 v139, v85, v77
	v_sub_f32_e32 v89, v89, v83
	;; [unrolled: 1-line block ×5, first 2 shown]
	v_fma_f32 v123, -0.5, v123, v38
	v_dual_fmac_f32 v38, -0.5, v124 :: v_dual_add_f32 v83, v110, v83
	v_add_f32_e32 v77, v132, v77
	v_sub_f32_e32 v157, v86, v73
	v_sub_f32_e32 v153, v70, v88
	v_add_f32_e32 v70, v118, v70
	v_fma_f32 v118, -0.5, v141, v56
	v_dual_fmac_f32 v56, -0.5, v148 :: v_dual_sub_f32 v133, v82, v66
	v_add_f32_e32 v110, v135, v136
	v_fma_f32 v136, -0.5, v142, v2
	v_fmac_f32_e32 v2, -0.5, v150
	v_sub_f32_e32 v143, v66, v82
	v_dual_add_f32 v66, v160, v66 :: v_dual_add_f32 v119, v46, v52
	v_dual_sub_f32 v124, v73, v78 :: v_dual_sub_f32 v137, v79, v68
	v_sub_f32_e32 v86, v86, v62
	v_add_f32_e32 v88, v88, v59
	v_fma_f32 v99, -0.5, v99, v7
	v_dual_add_f32 v111, v111, v112 :: v_dual_sub_f32 v82, v82, v58
	v_add_f32_e32 v73, v98, v73
	v_fma_f32 v98, -0.5, v105, v4
	v_fma_f32 v105, -0.5, v106, v4
	;; [unrolled: 1-line block ×3, first 2 shown]
	v_add_f32_e32 v4, v66, v65
	v_add_f32_e32 v66, v77, v80
	v_dual_add_f32 v142, v157, v158 :: v_dual_sub_f32 v147, v68, v79
	v_sub_f32_e32 v79, v79, v60
	v_fmac_f32_e32 v7, -0.5, v101
	v_sub_f32_e32 v101, v45, v47
	v_dual_fmac_f32 v49, v138, v104 :: v_dual_sub_f32 v144, v65, v58
	v_dual_sub_f32 v103, v78, v62 :: v_dual_sub_f32 v152, v80, v67
	v_dual_add_f32 v104, v75, v72 :: v_dual_add_f32 v109, v84, v61
	v_sub_f32_e32 v156, v59, v64
	v_add_f32_e32 v108, v87, v63
	v_dual_sub_f32 v84, v84, v75 :: v_dual_sub_f32 v159, v61, v72
	v_dual_sub_f32 v161, v71, v81 :: v_dual_add_f32 v64, v70, v64
	v_sub_f32_e32 v112, v68, v69
	v_add_f32_e32 v68, v131, v68
	v_dual_add_f32 v70, v83, v81 :: v_dual_sub_f32 v85, v85, v67
	v_fmamk_f32 v132, v101, 0x3f737871, v38
	v_dual_fmac_f32 v38, 0xbf737871, v101 :: v_dual_add_f32 v75, v100, v75
	v_dual_add_f32 v95, v1, v54 :: v_dual_add_f32 v102, v102, v103
	v_sub_f32_e32 v126, v41, v44
	v_dual_add_f32 v127, v45, v47 :: v_dual_sub_f32 v138, v60, v69
	v_sub_f32_e32 v125, v39, v37
	v_dual_sub_f32 v149, v69, v60 :: v_dual_add_f32 v84, v84, v159
	v_fma_f32 v114, -0.5, v114, v57
	v_dual_fmac_f32 v57, -0.5, v115 :: v_dual_add_f32 v100, v133, v134
	v_add_f32_e32 v134, v139, v140
	v_dual_add_f32 v140, v153, v154 :: v_dual_sub_f32 v145, v74, v87
	v_fma_f32 v107, -0.5, v108, v5
	v_add_f32_e32 v65, v68, v69
	v_fmamk_f32 v77, v112, 0xbf737871, v2
	v_fmac_f32_e32 v2, 0x3f737871, v112
	v_dual_fmamk_f32 v80, v85, 0xbf737871, v118 :: v_dual_add_f32 v69, v75, v72
	v_dual_fmamk_f32 v72, v79, 0x3f737871, v136 :: v_dual_sub_f32 v103, v74, v76
	v_add_f32_e32 v74, v162, v74
	v_sub_f32_e32 v121, v46, v54
	v_add_f32_e32 v97, v48, v40
	v_sub_f32_e32 v129, v45, v40
	v_dual_sub_f32 v163, v42, v43 :: v_dual_add_f32 v68, v73, v78
	v_fma_f32 v104, -0.5, v104, v55
	v_fmac_f32_e32 v55, -0.5, v109
	v_sub_f32_e32 v115, v51, v49
	v_fma_f32 v127, -0.5, v127, v48
	v_fmac_f32_e32 v48, -0.5, v128
	v_dual_add_f32 v128, v51, v49 :: v_dual_add_f32 v5, v74, v76
	v_fmamk_f32 v74, v82, 0x3f737871, v106
	v_fmamk_f32 v76, v164, 0xbf737871, v107
	v_fmac_f32_e32 v106, 0xbf737871, v82
	v_dual_add_f32 v125, v125, v126 :: v_dual_fmac_f32 v136, 0xbf737871, v79
	v_add_f32_e32 v126, v42, v43
	v_fma_f32 v119, -0.5, v119, v1
	v_dual_add_f32 v129, v129, v130 :: v_dual_fmac_f32 v118, 0x3f737871, v85
	v_add_f32_e32 v130, v0, v51
	v_sub_f32_e32 v87, v87, v63
	v_fmac_f32_e32 v1, -0.5, v120
	v_sub_f32_e32 v120, v37, v44
	v_add_f32_e32 v121, v121, v122
	v_dual_sub_f32 v122, v40, v50 :: v_dual_add_f32 v141, v155, v156
	v_dual_add_f32 v58, v4, v58 :: v_dual_add_f32 v89, v89, v161
	v_add_f32_e32 v64, v64, v59
	v_fma_f32 v108, -0.5, v113, v6
	v_fma_f32 v113, -0.5, v126, v0
	;; [unrolled: 1-line block ×3, first 2 shown]
	v_fmamk_f32 v128, v91, 0xbf737871, v57
	v_fmamk_f32 v78, v117, 0x3f737871, v56
	v_fmac_f32_e32 v56, 0xbf737871, v117
	v_fmac_f32_e32 v76, 0x3f167918, v82
	v_dual_add_f32 v60, v65, v60 :: v_dual_add_f32 v65, v66, v67
	v_add_f32_e32 v66, v68, v62
	s_delay_alu instid0(VALU_DEP_4)
	v_fmac_f32_e32 v56, 0x3f167918, v85
	v_fmac_f32_e32 v2, 0xbf167918, v79
	v_dual_add_f32 v62, v69, v61 :: v_dual_fmac_f32 v57, 0x3f737871, v91
	v_dual_sub_f32 v109, v39, v41 :: v_dual_fmamk_f32 v126, v90, 0x3f737871, v55
	v_add_f32_e32 v139, v151, v152
	v_fma_f32 v6, -0.5, v88, v6
	v_fmamk_f32 v88, v3, 0xbf737871, v7
	v_dual_fmac_f32 v7, 0x3f737871, v3 :: v_dual_add_f32 v4, v58, v60
	v_dual_fmac_f32 v55, 0xbf737871, v90 :: v_dual_sub_f32 v58, v58, v60
	v_fmamk_f32 v73, v87, 0xbf737871, v98
	v_fmac_f32_e32 v98, 0x3f737871, v87
	v_add_f32_e32 v60, v64, v62
	v_sub_f32_e32 v62, v64, v62
	v_fmac_f32_e32 v57, 0xbf167918, v94
	v_dual_add_f32 v133, v137, v138 :: v_dual_add_f32 v138, v147, v149
	v_dual_add_f32 v137, v145, v146 :: v_dual_fmamk_f32 v146, v92, 0x3f737871, v99
	v_dual_add_f32 v63, v5, v63 :: v_dual_fmac_f32 v78, 0xbf167918, v85
	v_dual_fmac_f32 v77, 0x3f167918, v79 :: v_dual_fmac_f32 v118, 0x3f167918, v117
	v_dual_fmac_f32 v98, 0x3f167918, v103 :: v_dual_fmac_f32 v55, 0x3f167918, v93
	;; [unrolled: 1-line block ×3, first 2 shown]
	v_dual_add_f32 v67, v70, v71 :: v_dual_fmac_f32 v72, 0x3f167918, v112
	s_delay_alu instid0(VALU_DEP_4) | instskip(NEXT) | instid1(VALU_DEP_4)
	v_fmac_f32_e32 v77, 0x3e9e377a, v139
	v_dual_fmac_f32 v55, 0x3e9e377a, v111 :: v_dual_fmac_f32 v78, 0x3e9e377a, v138
	s_delay_alu instid0(VALU_DEP_4)
	v_mul_f32_e32 v64, 0xbe9e377a, v57
	v_fmamk_f32 v75, v103, 0x3f737871, v105
	v_dual_add_f32 v135, v143, v144 :: v_dual_fmamk_f32 v144, v124, 0x3f737871, v6
	v_fmac_f32_e32 v72, 0x3e9e377a, v134
	v_dual_fmac_f32 v105, 0xbf737871, v103 :: v_dual_mul_f32 v70, 0xbf737871, v77
	v_fmac_f32_e32 v64, 0x3f737871, v55
	v_dual_fmac_f32 v75, 0xbf167918, v87 :: v_dual_fmac_f32 v136, 0xbf167918, v112
	v_fmac_f32_e32 v6, 0xbf737871, v124
	v_dual_fmac_f32 v73, 0xbf167918, v103 :: v_dual_fmac_f32 v80, 0xbf167918, v117
	v_dual_fmac_f32 v7, 0xbf167918, v92 :: v_dual_fmac_f32 v144, 0xbf167918, v86
	s_delay_alu instid0(VALU_DEP_4) | instskip(SKIP_4) | instid1(VALU_DEP_3)
	v_dual_fmac_f32 v75, 0x3e9e377a, v135 :: v_dual_fmac_f32 v70, 0x3e9e377a, v78
	v_fmamk_f32 v143, v109, 0xbf737871, v48
	v_fmac_f32_e32 v48, 0x3f737871, v109
	v_dual_fmac_f32 v6, 0x3f167918, v86 :: v_dual_add_f32 v5, v63, v65
	v_dual_fmac_f32 v146, 0x3f167918, v3 :: v_dual_sub_f32 v59, v63, v65
	v_fmac_f32_e32 v48, 0xbf167918, v120
	v_dual_fmac_f32 v128, 0x3f167918, v94 :: v_dual_add_f32 v61, v66, v67
	v_dual_sub_f32 v63, v66, v67 :: v_dual_fmac_f32 v76, 0x3e9e377a, v137
	v_dual_fmac_f32 v7, 0x3e9e377a, v102 :: v_dual_fmac_f32 v80, 0x3e9e377a, v133
	v_mul_f32_e32 v66, 0xbf167918, v72
	v_dual_fmac_f32 v48, 0x3e9e377a, v129 :: v_dual_fmac_f32 v73, 0x3e9e377a, v100
	v_fmac_f32_e32 v136, 0x3e9e377a, v134
	v_dual_fmac_f32 v105, 0x3f167918, v87 :: v_dual_fmac_f32 v74, 0x3f167918, v164
	s_delay_alu instid0(VALU_DEP_4)
	v_fmac_f32_e32 v66, 0x3f4f1bbd, v80
	v_fmamk_f32 v131, v163, 0xbf737871, v1
	v_dual_fmac_f32 v1, 0x3f737871, v163 :: v_dual_add_f32 v68, v75, v70
	v_fmac_f32_e32 v107, 0x3f737871, v164
	v_mul_f32_e32 v87, 0xbf737871, v57
	v_fmac_f32_e32 v56, 0x3e9e377a, v138
	s_delay_alu instid0(VALU_DEP_4)
	v_fmac_f32_e32 v1, 0xbf167918, v115
	v_fmac_f32_e32 v118, 0x3e9e377a, v133
	v_dual_fmac_f32 v146, 0x3e9e377a, v142 :: v_dual_mul_f32 v71, 0x3e9e377a, v77
	v_mul_f32_e32 v79, 0xbe9e377a, v2
	v_fmac_f32_e32 v87, 0xbe9e377a, v55
	v_dual_mul_f32 v77, 0xbf737871, v2 :: v_dual_add_f32 v2, v7, v64
	v_dual_sub_f32 v7, v7, v64 :: v_dual_add_f32 v64, v73, v66
	v_dual_fmac_f32 v107, 0xbf167918, v82 :: v_dual_fmac_f32 v106, 0xbf167918, v164
	v_mul_f32_e32 v82, 0xbf167918, v136
	v_fmac_f32_e32 v1, 0x3e9e377a, v121
	v_fmac_f32_e32 v105, 0x3e9e377a, v135
	;; [unrolled: 1-line block ×3, first 2 shown]
	v_fmamk_f32 v81, v94, 0x3f737871, v114
	v_mul_f32_e32 v67, 0x3f4f1bbd, v72
	v_dual_mul_f32 v85, 0xbf4f1bbd, v136 :: v_dual_fmac_f32 v82, 0xbf4f1bbd, v118
	s_delay_alu instid0(VALU_DEP_4) | instskip(NEXT) | instid1(VALU_DEP_4)
	v_add_f32_e32 v72, v105, v77
	v_dual_fmac_f32 v38, 0x3f167918, v122 :: v_dual_fmac_f32 v81, 0x3f167918, v91
	v_fmac_f32_e32 v98, 0x3e9e377a, v100
	v_fmac_f32_e32 v71, 0x3f737871, v78
	v_mul_f32_e32 v65, 0xbe9e377a, v48
	s_delay_alu instid0(VALU_DEP_4)
	v_fmac_f32_e32 v38, 0x3e9e377a, v125
	v_fmac_f32_e32 v81, 0x3e9e377a, v89
	v_fmamk_f32 v83, v93, 0xbf737871, v104
	v_dual_fmac_f32 v104, 0x3f737871, v93 :: v_dual_add_f32 v69, v76, v71
	v_dual_fmac_f32 v128, 0x3e9e377a, v116 :: v_dual_sub_f32 v71, v76, v71
	v_fmac_f32_e32 v144, 0x3e9e377a, v140
	v_add_f32_e32 v76, v98, v82
	v_dual_fmac_f32 v83, 0xbf167918, v90 :: v_dual_mul_f32 v100, 0xbf167918, v81
	v_fmac_f32_e32 v106, 0x3e9e377a, v110
	v_fmamk_f32 v145, v86, 0xbf737871, v108
	v_dual_fmac_f32 v107, 0x3e9e377a, v137 :: v_dual_fmac_f32 v74, 0x3e9e377a, v110
	s_delay_alu instid0(VALU_DEP_4)
	v_fmac_f32_e32 v83, 0x3e9e377a, v84
	v_fmac_f32_e32 v65, 0x3f737871, v38
	;; [unrolled: 1-line block ×3, first 2 shown]
	v_sub_f32_e32 v78, v98, v82
	v_dual_fmac_f32 v85, 0x3f167918, v118 :: v_dual_fmac_f32 v88, 0x3f167918, v92
	v_fmac_f32_e32 v100, 0x3f4f1bbd, v83
	v_fmac_f32_e32 v67, 0x3f167918, v80
	v_add_f32_e32 v55, v1, v65
	v_sub_f32_e32 v57, v1, v65
	v_fmac_f32_e32 v126, 0xbf167918, v93
	s_delay_alu instid0(VALU_DEP_4) | instskip(SKIP_4) | instid1(VALU_DEP_3)
	v_dual_fmac_f32 v108, 0x3f737871, v86 :: v_dual_add_f32 v65, v74, v67
	v_dual_sub_f32 v67, v74, v67 :: v_dual_sub_f32 v74, v105, v77
	v_fmac_f32_e32 v145, 0xbf167918, v124
	v_fmac_f32_e32 v6, 0x3e9e377a, v140
	v_dual_sub_f32 v70, v75, v70 :: v_dual_add_f32 v77, v106, v85
	v_dual_fmac_f32 v126, 0x3e9e377a, v111 :: v_dual_fmac_f32 v145, 0x3e9e377a, v141
	v_sub_f32_e32 v66, v73, v66
	v_fmac_f32_e32 v114, 0xbf737871, v94
	v_fmac_f32_e32 v88, 0x3e9e377a, v102
	v_fmac_f32_e32 v104, 0x3e9e377a, v84
	v_add_f32_e32 v80, v145, v100
	v_fmac_f32_e32 v79, 0x3f737871, v56
	v_mul_f32_e32 v56, 0xbf737871, v128
	v_fmac_f32_e32 v114, 0xbf167918, v91
	v_fmac_f32_e32 v108, 0x3f167918, v124
	s_delay_alu instid0(VALU_DEP_4)
	v_dual_sub_f32 v98, v46, v52 :: v_dual_sub_f32 v75, v107, v79
	v_add_f32_e32 v73, v107, v79
	v_dual_sub_f32 v79, v106, v85 :: v_dual_fmac_f32 v56, 0x3e9e377a, v126
	v_mul_f32_e32 v103, 0x3f4f1bbd, v81
	v_fmac_f32_e32 v114, 0x3e9e377a, v89
	v_fmac_f32_e32 v108, 0x3e9e377a, v141
	;; [unrolled: 1-line block ×3, first 2 shown]
	s_delay_alu instid0(VALU_DEP_4)
	v_dual_add_f32 v84, v144, v56 :: v_dual_fmac_f32 v103, 0x3f167918, v83
	v_sub_f32_e32 v86, v144, v56
	v_sub_f32_e32 v56, v54, v53
	v_add_f32_e32 v1, v6, v87
	v_sub_f32_e32 v93, v49, v43
	v_sub_f32_e32 v83, v146, v103
	;; [unrolled: 1-line block ×3, first 2 shown]
	v_fmamk_f32 v94, v56, 0xbf737871, v113
	v_dual_fmac_f32 v99, 0xbf737871, v92 :: v_dual_sub_f32 v92, v51, v42
	v_add_f32_e32 v81, v146, v103
	v_fmac_f32_e32 v143, 0x3f167918, v120
	s_delay_alu instid0(VALU_DEP_4) | instskip(SKIP_4) | instid1(VALU_DEP_3)
	v_fmac_f32_e32 v94, 0xbf167918, v98
	v_fmac_f32_e32 v132, 0x3e9e377a, v125
	v_dual_add_f32 v92, v92, v93 :: v_dual_fmac_f32 v99, 0xbf167918, v3
	v_mul_f32_e32 v3, 0xbf167918, v114
	v_dual_fmac_f32 v143, 0x3e9e377a, v129 :: v_dual_sub_f32 v82, v145, v100
	v_dual_fmac_f32 v94, 0x3e9e377a, v92 :: v_dual_fmac_f32 v99, 0x3e9e377a, v142
	s_delay_alu instid0(VALU_DEP_3) | instskip(NEXT) | instid1(VALU_DEP_1)
	v_fmac_f32_e32 v3, 0xbf4f1bbd, v104
	v_dual_mul_f32 v87, 0x3e9e377a, v128 :: v_dual_sub_f32 v90, v108, v3
	s_delay_alu instid0(VALU_DEP_1) | instskip(NEXT) | instid1(VALU_DEP_1)
	v_fmac_f32_e32 v87, 0x3f737871, v126
	v_add_f32_e32 v85, v88, v87
	v_sub_f32_e32 v87, v88, v87
	v_dual_add_f32 v88, v108, v3 :: v_dual_add_f32 v3, v130, v42
	v_dual_sub_f32 v42, v42, v51 :: v_dual_sub_f32 v51, v53, v52
	s_delay_alu instid0(VALU_DEP_2) | instskip(SKIP_2) | instid1(VALU_DEP_3)
	v_add_f32_e32 v3, v3, v43
	v_sub_f32_e32 v43, v43, v49
	v_mul_f32_e32 v91, 0xbf4f1bbd, v114
	v_add_f32_e32 v3, v3, v49
	v_fmamk_f32 v49, v98, 0x3f737871, v0
	v_fmac_f32_e32 v0, 0xbf737871, v98
	v_dual_add_f32 v42, v42, v43 :: v_dual_add_f32 v43, v95, v46
	v_dual_sub_f32 v46, v54, v46 :: v_dual_fmac_f32 v91, 0x3f167918, v104
	s_delay_alu instid0(VALU_DEP_4) | instskip(NEXT) | instid1(VALU_DEP_4)
	v_fmac_f32_e32 v49, 0xbf167918, v56
	v_fmac_f32_e32 v0, 0x3f167918, v56
	s_delay_alu instid0(VALU_DEP_4) | instskip(NEXT) | instid1(VALU_DEP_4)
	v_add_f32_e32 v43, v43, v52
	v_dual_fmac_f32 v113, 0x3f737871, v56 :: v_dual_add_f32 v46, v46, v51
	v_add_f32_e32 v89, v99, v91
	v_sub_f32_e32 v91, v99, v91
	v_dual_fmac_f32 v49, 0x3e9e377a, v42 :: v_dual_mul_f32 v52, 0x3e9e377a, v143
	v_fmac_f32_e32 v0, 0x3e9e377a, v42
	v_dual_add_f32 v42, v43, v53 :: v_dual_fmac_f32 v113, 0x3f167918, v98
	v_add_f32_e32 v43, v96, v39
	s_delay_alu instid0(VALU_DEP_4) | instskip(SKIP_1) | instid1(VALU_DEP_3)
	v_dual_sub_f32 v37, v37, v39 :: v_dual_fmac_f32 v52, 0x3f737871, v132
	v_sub_f32_e32 v39, v44, v41
	v_add_f32_e32 v41, v43, v41
	s_delay_alu instid0(VALU_DEP_2) | instskip(SKIP_4) | instid1(VALU_DEP_2)
	v_add_f32_e32 v37, v37, v39
	v_dual_sub_f32 v39, v40, v45 :: v_dual_sub_f32 v40, v50, v47
	v_fmac_f32_e32 v113, 0x3e9e377a, v92
	v_fmamk_f32 v92, v115, 0x3f737871, v119
	v_dual_fmac_f32 v119, 0xbf737871, v115 :: v_dual_add_f32 v44, v41, v44
	v_dual_add_f32 v41, v97, v45 :: v_dual_fmac_f32 v92, 0x3f167918, v163
	s_delay_alu instid0(VALU_DEP_2) | instskip(NEXT) | instid1(VALU_DEP_2)
	v_fmac_f32_e32 v119, 0xbf167918, v163
	v_fmac_f32_e32 v92, 0x3e9e377a, v46
	s_delay_alu instid0(VALU_DEP_2) | instskip(SKIP_2) | instid1(VALU_DEP_2)
	v_fmac_f32_e32 v119, 0x3e9e377a, v46
	v_fmamk_f32 v46, v122, 0xbf737871, v123
	v_fmac_f32_e32 v123, 0x3f737871, v122
	v_fmac_f32_e32 v46, 0xbf167918, v101
	s_delay_alu instid0(VALU_DEP_2) | instskip(NEXT) | instid1(VALU_DEP_2)
	v_fmac_f32_e32 v123, 0x3f167918, v101
	v_fmac_f32_e32 v46, 0x3e9e377a, v37
	s_delay_alu instid0(VALU_DEP_2) | instskip(SKIP_2) | instid1(VALU_DEP_2)
	v_fmac_f32_e32 v123, 0x3e9e377a, v37
	v_add_f32_e32 v37, v41, v47
	v_add_f32_e32 v39, v39, v40
	v_dual_mul_f32 v41, 0xbf737871, v48 :: v_dual_add_f32 v40, v37, v50
	v_mul_f32_e32 v50, 0xbf737871, v143
	s_delay_alu instid0(VALU_DEP_2)
	v_fmac_f32_e32 v41, 0xbe9e377a, v38
	v_fmac_f32_e32 v131, 0x3f167918, v115
	v_add_f32_e32 v37, v3, v44
	v_add_f32_e32 v38, v42, v40
	v_fmac_f32_e32 v50, 0x3e9e377a, v132
	v_fmamk_f32 v43, v120, 0x3f737871, v127
	v_dual_fmac_f32 v127, 0xbf737871, v120 :: v_dual_add_f32 v54, v0, v41
	v_sub_f32_e32 v56, v0, v41
	v_and_b32_e32 v0, 0xffff, v32
	s_delay_alu instid0(VALU_DEP_4) | instskip(NEXT) | instid1(VALU_DEP_4)
	v_fmac_f32_e32 v43, 0x3f167918, v109
	v_fmac_f32_e32 v127, 0xbf167918, v109
	v_add_f32_e32 v41, v49, v50
	v_sub_f32_e32 v49, v49, v50
	v_mul_u32_u24_e32 v0, 0x320, v0
	s_delay_alu instid0(VALU_DEP_4) | instskip(NEXT) | instid1(VALU_DEP_1)
	v_fmac_f32_e32 v127, 0x3e9e377a, v39
	v_mul_f32_e32 v51, 0xbf167918, v127
	v_mul_f32_e32 v53, 0xbf4f1bbd, v127
	s_delay_alu instid0(VALU_DEP_2) | instskip(NEXT) | instid1(VALU_DEP_1)
	v_fmac_f32_e32 v51, 0xbf4f1bbd, v123
	v_sub_f32_e32 v32, v113, v51
	v_fmac_f32_e32 v43, 0x3e9e377a, v39
	v_add_f32_e32 v45, v113, v51
	s_delay_alu instid0(VALU_DEP_2) | instskip(SKIP_3) | instid1(VALU_DEP_4)
	v_mul_f32_e32 v47, 0xbf167918, v43
	v_dual_mul_f32 v48, 0x3f4f1bbd, v43 :: v_dual_sub_f32 v43, v3, v44
	v_lshlrev_b32_e32 v3, 3, v36
	v_and_b32_e32 v36, 0xffff, v33
	v_fmac_f32_e32 v47, 0x3f4f1bbd, v46
	s_delay_alu instid0(VALU_DEP_4)
	v_fmac_f32_e32 v48, 0x3f167918, v46
	v_fmac_f32_e32 v131, 0x3e9e377a, v121
	v_add3_u32 v0, 0, v0, v3
	v_mul_u32_u24_e32 v3, 0x320, v36
	ds_store_2addr_b64 v0, v[4:5], v[64:65] offset1:10
	ds_store_2addr_b64 v0, v[68:69], v[72:73] offset0:20 offset1:30
	v_mul_u32_u24_e32 v4, 0x320, v31
	v_lshlrev_b32_e32 v5, 3, v34
	v_add3_u32 v3, 0, v3, v35
	v_add_f32_e32 v39, v94, v47
	v_sub_f32_e32 v44, v42, v40
	v_add_f32_e32 v40, v92, v48
	v_dual_sub_f32 v50, v131, v52 :: v_dual_fmac_f32 v53, 0x3f167918, v123
	ds_store_2addr_b64 v0, v[76:77], v[58:59] offset0:40 offset1:50
	ds_store_2addr_b64 v0, v[66:67], v[70:71] offset0:60 offset1:70
	;; [unrolled: 1-line block ×3, first 2 shown]
	ds_store_2addr_b64 v3, v[60:61], v[80:81] offset1:10
	v_add3_u32 v0, 0, v4, v5
	ds_store_2addr_b64 v3, v[84:85], v[1:2] offset0:20 offset1:30
	ds_store_2addr_b64 v3, v[88:89], v[62:63] offset0:40 offset1:50
	;; [unrolled: 1-line block ×4, first 2 shown]
	ds_store_2addr_b64 v0, v[37:38], v[39:40] offset1:10
	v_mul_lo_u16 v2, v30, 41
	v_dual_add_f32 v42, v131, v52 :: v_dual_sub_f32 v47, v94, v47
	v_dual_sub_f32 v48, v92, v48 :: v_dual_sub_f32 v33, v119, v53
	v_add_nc_u32_e32 v1, 0xffffff9c, v8
	v_lshrrev_b16 v3, 2, v28
	v_add_nc_u16 v31, v8, 0x168
	v_add_f32_e32 v46, v119, v53
	v_lshrrev_b16 v6, 12, v2
	v_add_nc_u16 v2, v8, 0x1e0
	ds_store_2addr_b64 v0, v[41:42], v[54:55] offset0:20 offset1:30
	ds_store_2addr_b64 v0, v[45:46], v[43:44] offset0:40 offset1:50
	s_wait_alu 0xf1ff
	v_cndmask_b32_e64 v5, v1, v8, s0
	ds_store_2addr_b64 v0, v[47:48], v[49:50] offset0:60 offset1:70
	ds_store_2addr_b64 v0, v[56:57], v[32:33] offset0:80 offset1:90
	v_and_b32_e32 v0, 0xffff, v3
	v_lshrrev_b16 v1, 2, v31
	v_lshrrev_b16 v7, 2, v2
	v_mul_i32_i24_e32 v3, 5, v5
	v_mov_b32_e32 v4, 0
	v_mul_u32_u24_e32 v0, 0x147b, v0
	v_and_b32_e32 v1, 0xffff, v1
	v_and_b32_e32 v7, 0xffff, v7
	v_mul_lo_u16 v32, 0x64, v6
	global_wb scope:SCOPE_SE
	s_wait_dscnt 0x0
	v_lshrrev_b32_e32 v30, 17, v0
	v_mul_u32_u24_e32 v33, 0x147b, v1
	v_mul_u32_u24_e32 v7, 0x147b, v7
	v_lshlrev_b64_e32 v[0:1], 3, v[3:4]
	v_sub_nc_u16 v3, v29, v32
	v_mul_lo_u16 v32, 0x64, v30
	v_lshrrev_b32_e32 v29, 17, v33
	v_lshrrev_b32_e32 v7, 17, v7
	s_barrier_signal -1
	v_and_b32_e32 v33, 0xff, v3
	v_sub_nc_u16 v3, v28, v32
	v_mul_lo_u16 v28, 0x64, v29
	v_mul_lo_u16 v34, 0x64, v7
	v_add_co_u32 v0, s0, s8, v0
	s_wait_alu 0xf1ff
	v_add_co_ci_u32_e64 v1, s0, s9, v1, s0
	v_sub_nc_u16 v28, v31, v28
	v_sub_nc_u16 v2, v2, v34
	v_and_b32_e32 v32, 0xffff, v3
	v_mul_u32_u24_e32 v3, 5, v33
	s_barrier_wait -1
	v_and_b32_e32 v31, 0xffff, v28
	v_and_b32_e32 v28, 0xffff, v2
	global_inv scope:SCOPE_SE
	v_mul_u32_u24_e32 v34, 5, v32
	v_lshlrev_b32_e32 v3, 3, v3
	global_load_b128 v[37:40], v[0:1], off offset:736
	v_mul_u32_u24_e32 v2, 5, v31
	v_mul_u32_u24_e32 v35, 5, v28
	v_lshlrev_b32_e32 v34, 3, v34
	global_load_b128 v[42:45], v3, s[8:9] offset:736
	v_cmp_lt_u32_e64 s0, 0x63, v8
	v_lshlrev_b32_e32 v2, 3, v2
	v_lshlrev_b32_e32 v35, 3, v35
	s_clause 0xc
	global_load_b128 v[46:49], v34, s[8:9] offset:736
	global_load_b128 v[52:55], v2, s[8:9] offset:736
	global_load_b128 v[64:67], v35, s[8:9] offset:736
	global_load_b64 v[58:59], v[0:1], off offset:752
	global_load_b128 v[68:71], v34, s[8:9] offset:720
	global_load_b64 v[136:137], v3, s[8:9] offset:752
	global_load_b64 v[138:139], v34, s[8:9] offset:752
	global_load_b128 v[72:75], v2, s[8:9] offset:720
	global_load_b128 v[76:79], v35, s[8:9] offset:720
	;; [unrolled: 1-line block ×3, first 2 shown]
	global_load_b64 v[140:141], v2, s[8:9] offset:752
	global_load_b64 v[142:143], v35, s[8:9] offset:752
	global_load_b128 v[84:87], v[0:1], off offset:720
	ds_load_2addr_b32 v[144:145], v24 offset0:16 offset1:17
	ds_load_2addr_b64 v[88:91], v22 offset0:96 offset1:216
	ds_load_2addr_b64 v[92:95], v24 offset0:128 offset1:248
	;; [unrolled: 1-line block ×9, first 2 shown]
	ds_load_b64 v[146:147], v14 offset:13440
	ds_load_2addr_b64 v[124:127], v25 offset0:48 offset1:168
	ds_load_2addr_b64 v[128:131], v27 offset0:32 offset1:152
	;; [unrolled: 1-line block ×3, first 2 shown]
	ds_load_2addr_b64 v[132:135], v14 offset1:120
	v_mul_u32_u24_e32 v29, 0x12c0, v29
	s_wait_loadcnt_dscnt 0xe0e
	v_mul_f32_e32 v62, v145, v38
	v_mul_f32_e32 v36, v38, v144
	s_wait_dscnt 0xd
	v_mul_f32_e32 v60, v89, v40
	s_wait_loadcnt_dscnt 0xa0a
	v_mul_f32_e32 v152, v103, v65
	v_mul_f32_e32 v50, v90, v45
	v_fmac_f32_e32 v62, v37, v144
	v_fma_f32 v144, v145, v37, -v36
	s_wait_loadcnt_dscnt 0x507
	v_mul_f32_e32 v145, v115, v75
	v_dual_fmac_f32 v60, v88, v39 :: v_dual_mul_f32 v51, v91, v45
	v_dual_mul_f32 v56, v92, v43 :: v_dual_mul_f32 v65, v102, v65
	s_delay_alu instid0(VALU_DEP_3)
	v_fmac_f32_e32 v145, v114, v74
	v_fma_f32 v61, v91, v44, -v50
	s_wait_loadcnt_dscnt 0x303
	v_dual_fmac_f32 v51, v90, v44 :: v_dual_mul_f32 v90, v127, v83
	v_mul_f32_e32 v83, v126, v83
	v_mul_f32_e32 v148, v93, v43
	v_dual_mul_f32 v50, v146, v79 :: v_dual_mul_f32 v63, v109, v81
	s_delay_alu instid0(VALU_DEP_4) | instskip(NEXT) | instid1(VALU_DEP_4)
	v_fmac_f32_e32 v90, v126, v82
	v_fma_f32 v82, v127, v82, -v83
	v_dual_mul_f32 v41, v88, v40 :: v_dual_mul_f32 v40, v97, v49
	s_wait_loadcnt_dscnt 0x1
	v_mul_f32_e32 v83, v85, v3
	v_mul_f32_e32 v57, v117, v137
	;; [unrolled: 1-line block ×3, first 2 shown]
	v_fma_f32 v88, v89, v39, -v41
	v_dual_mul_f32 v89, v147, v79 :: v_dual_fmac_f32 v40, v96, v48
	v_mul_f32_e32 v79, v108, v81
	v_fma_f32 v81, v93, v42, -v56
	v_fma_f32 v93, v103, v64, -v65
	v_mul_f32_e32 v65, v85, v2
	v_dual_fmac_f32 v83, v84, v2 :: v_dual_add_f32 v2, v82, v61
	v_fmac_f32_e32 v148, v92, v42
	v_fmac_f32_e32 v57, v116, v136
	v_mul_f32_e32 v43, v95, v47
	v_fmac_f32_e32 v63, v108, v80
	v_mul_f32_e32 v47, v94, v47
	s_wait_dscnt 0x0
	v_add_f32_e32 v85, v135, v82
	v_dual_fmac_f32 v135, -0.5, v2 :: v_dual_sub_f32 v2, v90, v51
	v_mul_f32_e32 v151, v101, v53
	v_mul_f32_e32 v34, v105, v67
	;; [unrolled: 1-line block ×3, first 2 shown]
	v_fma_f32 v56, v95, v46, -v47
	v_fmamk_f32 v95, v2, 0x3f5db3d7, v135
	v_fmac_f32_e32 v135, 0xbf5db3d7, v2
	v_mul_f32_e32 v41, v121, v73
	v_mul_f32_e32 v53, v100, v53
	;; [unrolled: 1-line block ×3, first 2 shown]
	v_fmac_f32_e32 v34, v104, v66
	v_fmac_f32_e32 v36, v122, v76
	;; [unrolled: 1-line block ×5, first 2 shown]
	v_mul_f32_e32 v73, v120, v73
	v_mul_f32_e32 v35, v99, v55
	;; [unrolled: 1-line block ×5, first 2 shown]
	v_fma_f32 v92, v101, v52, -v53
	v_fmac_f32_e32 v152, v102, v64
	v_dual_fmac_f32 v42, v128, v140 :: v_dual_mul_f32 v75, v114, v75
	v_mul_f32_e32 v64, v87, v124
	v_add_f32_e32 v100, v41, v151
	v_fma_f32 v52, v121, v72, -v73
	v_mul_f32_e32 v73, v87, v125
	v_fmac_f32_e32 v43, v94, v46
	v_fma_f32 v55, v97, v48, -v149
	v_fma_f32 v46, v99, v54, -v150
	v_fmac_f32_e32 v38, v110, v68
	v_fma_f32 v53, v111, v68, -v69
	v_fma_f32 v48, v147, v78, -v50
	v_dual_fmac_f32 v73, v86, v124 :: v_dual_sub_f32 v68, v148, v57
	v_fmac_f32_e32 v35, v98, v54
	v_dual_sub_f32 v78, v151, v42 :: v_dual_mul_f32 v77, v122, v77
	v_fma_f32 v54, v115, v74, -v75
	v_fma_f32 v74, v86, v125, -v64
	v_mul_f32_e32 v153, v107, v59
	v_mul_f32_e32 v59, v106, v59
	;; [unrolled: 1-line block ×3, first 2 shown]
	v_fma_f32 v44, v123, v76, -v77
	v_add_f32_e32 v72, v73, v60
	v_add_f32_e32 v76, v133, v74
	v_mul_f32_e32 v45, v113, v71
	v_mul_f32_e32 v71, v112, v71
	v_fma_f32 v94, v107, v58, -v59
	s_delay_alu instid0(VALU_DEP_4)
	v_dual_mul_f32 v47, v130, v143 :: v_dual_add_f32 v76, v76, v88
	v_fma_f32 v3, v84, v3, -v65
	v_fma_f32 v84, -0.5, v72, v132
	v_sub_f32_e32 v72, v145, v35
	v_fma_f32 v69, v117, v136, -v137
	v_add_f32_e32 v2, v90, v51
	v_add_f32_e32 v90, v134, v90
	v_fmac_f32_e32 v153, v106, v58
	v_fma_f32 v58, v113, v70, -v71
	v_fma_f32 v71, v109, v80, -v79
	v_add_f32_e32 v65, v81, v69
	v_fma_f32 v47, v131, v142, -v47
	v_mul_f32_e32 v91, v128, v141
	v_mul_f32_e32 v67, v104, v67
	v_add_f32_e32 v87, v71, v81
	v_fmac_f32_e32 v71, -0.5, v65
	v_add_f32_e32 v64, v148, v57
	v_fma_f32 v50, v129, v140, -v91
	v_add_f32_e32 v86, v63, v148
	v_mul_f32_e32 v49, v119, v139
	v_fmamk_f32 v91, v68, 0x3f5db3d7, v71
	v_fmac_f32_e32 v71, 0xbf5db3d7, v68
	v_add_f32_e32 v68, v74, v88
	v_fmac_f32_e32 v63, -0.5, v64
	v_dual_add_f32 v77, v151, v42 :: v_dual_sub_f32 v88, v74, v88
	v_fma_f32 v98, -0.5, v2, v134
	s_delay_alu instid0(VALU_DEP_4)
	v_fma_f32 v97, -0.5, v68, v133
	v_add_f32_e32 v68, v54, v46
	v_dual_fmac_f32 v45, v112, v70 :: v_dual_add_f32 v110, v1, v48
	v_sub_f32_e32 v70, v81, v69
	v_fma_f32 v39, v105, v66, -v67
	ds_load_2addr_b64 v[64:67], v20 offset0:112 offset1:232
	v_fmac_f32_e32 v41, -0.5, v77
	v_dual_sub_f32 v77, v92, v50 :: v_dual_fmamk_f32 v96, v70, 0xbf5db3d7, v63
	v_add_f32_e32 v101, v52, v92
	v_add_f32_e32 v109, v44, v93
	s_delay_alu instid0(VALU_DEP_3)
	v_dual_sub_f32 v81, v144, v94 :: v_dual_fmamk_f32 v104, v77, 0xbf5db3d7, v41
	v_fmac_f32_e32 v41, 0x3f5db3d7, v77
	v_add_f32_e32 v77, v58, v55
	global_wb scope:SCOPE_SE
	s_wait_dscnt 0x0
	s_barrier_signal -1
	s_barrier_wait -1
	global_inv scope:SCOPE_SE
	v_fma_f32 v106, -0.5, v77, v65
	v_add_f32_e32 v77, v3, v144
	v_add_f32_e32 v99, v67, v54
	v_dual_fmac_f32 v67, -0.5, v68 :: v_dual_add_f32 v68, v92, v50
	v_mul_f32_e32 v139, v118, v139
	s_delay_alu instid0(VALU_DEP_4) | instskip(SKIP_1) | instid1(VALU_DEP_4)
	v_add_f32_e32 v77, v77, v94
	v_dual_fmac_f32 v63, 0x3f5db3d7, v70 :: v_dual_add_f32 v92, v64, v45
	v_fmac_f32_e32 v52, -0.5, v68
	v_fmamk_f32 v102, v72, 0x3f5db3d7, v67
	s_delay_alu instid0(VALU_DEP_4) | instskip(SKIP_3) | instid1(VALU_DEP_2)
	v_add_f32_e32 v74, v76, v77
	v_sub_f32_e32 v76, v76, v77
	v_mul_f32_e32 v70, -0.5, v71
	v_fma_f32 v59, v119, v138, -v139
	v_fmac_f32_e32 v70, 0x3f5db3d7, v63
	s_delay_alu instid0(VALU_DEP_1) | instskip(SKIP_2) | instid1(VALU_DEP_1)
	v_add_f32_e32 v2, v135, v70
	v_sub_f32_e32 v68, v135, v70
	v_add_f32_e32 v70, v45, v40
	v_fma_f32 v105, -0.5, v70, v64
	v_add_f32_e32 v64, v93, v47
	s_delay_alu instid0(VALU_DEP_1) | instskip(NEXT) | instid1(VALU_DEP_1)
	v_dual_mul_f32 v37, v131, v143 :: v_dual_fmac_f32 v44, -0.5, v64
	v_fmac_f32_e32 v37, v130, v142
	s_delay_alu instid0(VALU_DEP_1) | instskip(SKIP_2) | instid1(VALU_DEP_3)
	v_dual_fmac_f32 v49, v118, v138 :: v_dual_sub_f32 v64, v152, v37
	v_add_f32_e32 v70, v152, v37
	v_add_f32_e32 v111, v36, v152
	v_fmamk_f32 v112, v64, 0x3f5db3d7, v44
	s_delay_alu instid0(VALU_DEP_3) | instskip(SKIP_3) | instid1(VALU_DEP_3)
	v_fmac_f32_e32 v36, -0.5, v70
	v_dual_sub_f32 v70, v93, v47 :: v_dual_add_f32 v57, v86, v57
	v_dual_fmac_f32 v67, 0xbf5db3d7, v72 :: v_dual_add_f32 v72, v145, v35
	v_dual_add_f32 v107, v66, v145 :: v_dual_fmac_f32 v44, 0xbf5db3d7, v64
	v_fmamk_f32 v113, v70, 0xbf5db3d7, v36
	v_fmac_f32_e32 v36, 0x3f5db3d7, v70
	s_delay_alu instid0(VALU_DEP_4) | instskip(SKIP_4) | instid1(VALU_DEP_4)
	v_fma_f32 v108, -0.5, v72, v66
	v_add_f32_e32 v66, v48, v39
	v_mul_f32_e32 v72, -0.5, v44
	v_dual_add_f32 v70, v89, v34 :: v_dual_add_f32 v75, v132, v73
	v_add_f32_e32 v115, v0, v89
	v_fmac_f32_e32 v1, -0.5, v66
	v_sub_f32_e32 v66, v89, v34
	v_fmac_f32_e32 v72, 0x3f5db3d7, v36
	v_fma_f32 v0, -0.5, v70, v0
	v_sub_f32_e32 v79, v62, v153
	v_fmamk_f32 v89, v88, 0xbf5db3d7, v84
	v_fmamk_f32 v114, v66, 0x3f5db3d7, v1
	v_fmac_f32_e32 v1, 0xbf5db3d7, v66
	v_fmac_f32_e32 v84, 0x3f5db3d7, v88
	s_delay_alu instid0(VALU_DEP_2) | instskip(SKIP_3) | instid1(VALU_DEP_1)
	v_add_f32_e32 v70, v1, v72
	v_sub_f32_e32 v72, v1, v72
	v_add_f32_e32 v1, v75, v60
	v_sub_f32_e32 v60, v73, v60
	v_fmamk_f32 v93, v60, 0x3f5db3d7, v97
	v_fmac_f32_e32 v97, 0xbf5db3d7, v60
	v_fmamk_f32 v103, v78, 0x3f5db3d7, v52
	v_fmac_f32_e32 v52, 0xbf5db3d7, v78
	v_mul_f32_e32 v60, 0xbf5db3d7, v71
	s_delay_alu instid0(VALU_DEP_2) | instskip(NEXT) | instid1(VALU_DEP_2)
	v_mul_f32_e32 v78, -0.5, v52
	v_fmac_f32_e32 v60, -0.5, v63
	v_mul_f32_e32 v63, 0xbf5db3d7, v91
	s_delay_alu instid0(VALU_DEP_1) | instskip(NEXT) | instid1(VALU_DEP_1)
	v_dual_fmac_f32 v78, 0x3f5db3d7, v41 :: v_dual_fmac_f32 v63, 0.5, v96
	v_add_f32_e32 v64, v67, v78
	v_sub_f32_e32 v66, v67, v78
	v_add_f32_e32 v67, v144, v94
	s_delay_alu instid0(VALU_DEP_1) | instskip(SKIP_1) | instid1(VALU_DEP_1)
	v_fmac_f32_e32 v3, -0.5, v67
	v_dual_add_f32 v67, v62, v153 :: v_dual_add_f32 v62, v83, v62
	v_fmac_f32_e32 v83, -0.5, v67
	s_delay_alu instid0(VALU_DEP_2) | instskip(SKIP_1) | instid1(VALU_DEP_2)
	v_dual_fmamk_f32 v67, v79, 0x3f5db3d7, v3 :: v_dual_add_f32 v62, v62, v153
	v_fmac_f32_e32 v3, 0xbf5db3d7, v79
	v_dual_fmamk_f32 v75, v81, 0xbf5db3d7, v83 :: v_dual_mul_f32 v80, 0xbf5db3d7, v67
	v_mul_f32_e32 v67, 0.5, v67
	s_delay_alu instid0(VALU_DEP_4) | instskip(NEXT) | instid1(VALU_DEP_3)
	v_add_f32_e32 v73, v1, v62
	v_dual_fmac_f32 v83, 0x3f5db3d7, v81 :: v_dual_fmac_f32 v80, 0.5, v75
	s_delay_alu instid0(VALU_DEP_3)
	v_fmac_f32_e32 v67, 0x3f5db3d7, v75
	v_sub_f32_e32 v75, v1, v62
	v_mul_f32_e32 v1, 0xbf5db3d7, v3
	v_dual_mul_f32 v3, -0.5, v3 :: v_dual_sub_f32 v62, v82, v61
	v_add_f32_e32 v77, v89, v80
	v_add_f32_e32 v78, v93, v67
	s_delay_alu instid0(VALU_DEP_4) | instskip(NEXT) | instid1(VALU_DEP_4)
	v_fmac_f32_e32 v1, -0.5, v83
	v_fmac_f32_e32 v3, 0x3f5db3d7, v83
	v_fmamk_f32 v71, v62, 0xbf5db3d7, v98
	v_dual_fmac_f32 v98, 0x3f5db3d7, v62 :: v_dual_sub_f32 v79, v89, v80
	s_delay_alu instid0(VALU_DEP_3) | instskip(SKIP_2) | instid1(VALU_DEP_4)
	v_dual_add_f32 v81, v84, v1 :: v_dual_add_f32 v82, v97, v3
	v_dual_sub_f32 v83, v84, v1 :: v_dual_sub_f32 v84, v97, v3
	v_add_f32_e32 v3, v90, v51
	v_dual_sub_f32 v80, v93, v67 :: v_dual_add_f32 v1, v98, v60
	v_add_f32_e32 v51, v85, v61
	v_dual_add_f32 v62, v87, v69 :: v_dual_sub_f32 v67, v98, v60
	s_delay_alu instid0(VALU_DEP_4) | instskip(SKIP_2) | instid1(VALU_DEP_4)
	v_add_f32_e32 v60, v3, v57
	v_sub_f32_e32 v85, v3, v57
	v_add_f32_e32 v3, v56, v59
	v_add_f32_e32 v61, v51, v62
	v_dual_sub_f32 v86, v51, v62 :: v_dual_add_f32 v51, v53, v56
	s_delay_alu instid0(VALU_DEP_3)
	v_dual_sub_f32 v62, v43, v49 :: v_dual_fmac_f32 v53, -0.5, v3
	v_add_f32_e32 v3, v43, v49
	v_mul_f32_e32 v69, 0.5, v91
	v_add_f32_e32 v87, v71, v63
	v_sub_f32_e32 v89, v71, v63
	v_add_f32_e32 v43, v38, v43
	v_dual_fmac_f32 v38, -0.5, v3 :: v_dual_fmamk_f32 v3, v62, 0x3f5db3d7, v53
	v_sub_f32_e32 v63, v56, v59
	v_fmac_f32_e32 v69, 0x3f5db3d7, v96
	v_add_f32_e32 v57, v92, v40
	v_add_f32_e32 v43, v43, v49
	v_add_f32_e32 v49, v51, v59
	v_dual_mul_f32 v51, 0xbf5db3d7, v3 :: v_dual_fmamk_f32 v56, v63, 0xbf5db3d7, v38
	v_dual_mul_f32 v3, 0.5, v3 :: v_dual_sub_f32 v40, v45, v40
	v_dual_add_f32 v65, v65, v58 :: v_dual_add_f32 v88, v95, v69
	v_dual_sub_f32 v90, v95, v69 :: v_dual_sub_f32 v59, v58, v55
	s_delay_alu instid0(VALU_DEP_3) | instskip(NEXT) | instid1(VALU_DEP_4)
	v_fmac_f32_e32 v3, 0x3f5db3d7, v56
	v_fmamk_f32 v69, v40, 0x3f5db3d7, v106
	v_fmac_f32_e32 v53, 0xbf5db3d7, v62
	v_fmac_f32_e32 v51, 0.5, v56
	v_fmamk_f32 v45, v59, 0xbf5db3d7, v105
	v_fmac_f32_e32 v38, 0x3f5db3d7, v63
	v_add_f32_e32 v92, v69, v3
	v_dual_sub_f32 v94, v69, v3 :: v_dual_mul_f32 v3, 0xbf5db3d7, v53
	v_add_f32_e32 v65, v65, v55
	v_add_f32_e32 v55, v57, v43
	v_sub_f32_e32 v57, v57, v43
	v_add_f32_e32 v91, v45, v51
	v_sub_f32_e32 v93, v45, v51
	v_fmac_f32_e32 v105, 0x3f5db3d7, v59
	v_mul_f32_e32 v43, -0.5, v53
	v_sub_f32_e32 v45, v54, v46
	v_dual_fmac_f32 v3, -0.5, v38 :: v_dual_fmac_f32 v106, 0xbf5db3d7, v40
	s_delay_alu instid0(VALU_DEP_3) | instskip(NEXT) | instid1(VALU_DEP_3)
	v_dual_add_f32 v56, v65, v49 :: v_dual_fmac_f32 v43, 0x3f5db3d7, v38
	v_fmamk_f32 v38, v45, 0xbf5db3d7, v108
	v_fmac_f32_e32 v108, 0x3f5db3d7, v45
	s_delay_alu instid0(VALU_DEP_4)
	v_add_f32_e32 v40, v105, v3
	v_sub_f32_e32 v51, v105, v3
	v_add_f32_e32 v3, v107, v35
	v_dual_add_f32 v45, v100, v42 :: v_dual_sub_f32 v58, v65, v49
	v_mul_f32_e32 v49, 0xbf5db3d7, v52
	v_mul_f32_e32 v53, 0xbf5db3d7, v103
	s_delay_alu instid0(VALU_DEP_3)
	v_dual_mul_f32 v59, 0.5, v112 :: v_dual_add_f32 v42, v3, v45
	v_sub_f32_e32 v45, v3, v45
	v_sub_f32_e32 v3, v48, v39
	v_fmac_f32_e32 v49, -0.5, v41
	v_fmac_f32_e32 v53, 0.5, v104
	v_dual_fmac_f32 v59, 0x3f5db3d7, v113 :: v_dual_mul_f32 v54, 0.5, v103
	s_delay_alu instid0(VALU_DEP_4)
	v_fmamk_f32 v48, v3, 0xbf5db3d7, v0
	v_fmac_f32_e32 v0, 0x3f5db3d7, v3
	v_mul_f32_e32 v3, 0xbf5db3d7, v44
	v_dual_mul_f32 v44, 0xbf5db3d7, v112 :: v_dual_add_f32 v63, v108, v49
	v_sub_f32_e32 v65, v108, v49
	v_add_f32_e32 v49, v38, v53
	s_delay_alu instid0(VALU_DEP_3) | instskip(SKIP_1) | instid1(VALU_DEP_2)
	v_dual_fmac_f32 v3, -0.5, v36 :: v_dual_fmac_f32 v44, 0.5, v113
	v_dual_sub_f32 v53, v38, v53 :: v_dual_add_f32 v38, v115, v34
	v_dual_add_f32 v62, v111, v37 :: v_dual_add_f32 v69, v0, v3
	v_sub_f32_e32 v71, v0, v3
	s_wait_alu 0xf1ff
	v_cndmask_b32_e64 v0, 0, 0x12c0, s0
	v_lshlrev_b32_e32 v3, 3, v5
	v_and_b32_e32 v5, 0xffff, v6
	v_dual_add_f32 v95, v109, v47 :: v_dual_add_f32 v36, v48, v44
	v_sub_f32_e32 v47, v48, v44
	s_delay_alu instid0(VALU_DEP_4) | instskip(NEXT) | instid1(VALU_DEP_4)
	v_add3_u32 v0, 0, v0, v3
	v_mul_u32_u24_e32 v3, 0x12c0, v5
	v_dual_sub_f32 v48, v114, v59 :: v_dual_lshlrev_b32 v5, 3, v33
	s_delay_alu instid0(VALU_DEP_3)
	v_dual_add_f32 v41, v106, v43 :: v_dual_add_nc_u32 v6, 0x400, v0
	ds_store_2addr_b64 v0, v[73:74], v[77:78] offset1:100
	v_add3_u32 v3, 0, v3, v5
	v_mul_u32_u24_e32 v5, 0x12c0, v30
	v_lshlrev_b32_e32 v30, 3, v32
	v_add_nc_u32_e32 v0, 0x800, v0
	ds_store_2addr_b64 v6, v[81:82], v[75:76] offset0:72 offset1:172
	ds_store_2addr_b64 v0, v[79:80], v[83:84] offset0:144 offset1:244
	v_add3_u32 v5, 0, v5, v30
	v_add_nc_u32_e32 v0, 0x400, v3
	v_lshlrev_b32_e32 v30, 3, v31
	v_dual_add_f32 v35, v99, v46 :: v_dual_add_nc_u32 v6, 0x800, v3
	v_add_f32_e32 v46, v101, v50
	v_fmac_f32_e32 v54, 0x3f5db3d7, v104
	ds_store_2addr_b64 v3, v[60:61], v[87:88] offset1:100
	ds_store_2addr_b64 v0, v[1:2], v[85:86] offset0:72 offset1:172
	ds_store_2addr_b64 v6, v[89:90], v[67:68] offset0:144 offset1:244
	v_add_nc_u32_e32 v0, 0x400, v5
	v_add3_u32 v1, 0, v29, v30
	v_mul_u32_u24_e32 v2, 0x12c0, v7
	v_dual_sub_f32 v52, v106, v43 :: v_dual_lshlrev_b32 v3, 3, v28
	v_add_nc_u32_e32 v6, 0x800, v5
	ds_store_2addr_b64 v5, v[55:56], v[91:92] offset1:100
	ds_store_2addr_b64 v0, v[40:41], v[57:58] offset0:72 offset1:172
	v_mul_u32_u24_e32 v5, 5, v8
	v_add_f32_e32 v43, v35, v46
	v_add_f32_e32 v50, v102, v54
	v_dual_add_f32 v39, v110, v39 :: v_dual_sub_f32 v46, v35, v46
	v_add_nc_u32_e32 v0, 0x400, v1
	v_add3_u32 v2, 0, v2, v3
	v_sub_f32_e32 v54, v102, v54
	ds_store_2addr_b64 v6, v[93:94], v[51:52] offset0:144 offset1:244
	ds_store_2addr_b64 v1, v[42:43], v[49:50] offset1:100
	v_add_nc_u32_e32 v1, 0x800, v1
	v_dual_add_f32 v34, v38, v62 :: v_dual_lshlrev_b32 v7, 3, v5
	v_add_f32_e32 v35, v39, v95
	v_add_f32_e32 v37, v114, v59
	v_dual_sub_f32 v38, v38, v62 :: v_dual_sub_f32 v39, v39, v95
	ds_store_2addr_b64 v0, v[63:64], v[45:46] offset0:72 offset1:172
	v_add_nc_u32_e32 v0, 0x400, v2
	v_add_nc_u32_e32 v3, 0x800, v2
	ds_store_2addr_b64 v1, v[53:54], v[65:66] offset0:144 offset1:244
	ds_store_2addr_b64 v2, v[34:35], v[36:37] offset1:100
	ds_store_2addr_b64 v0, v[69:70], v[38:39] offset0:72 offset1:172
	ds_store_2addr_b64 v3, v[47:48], v[71:72] offset0:144 offset1:244
	global_wb scope:SCOPE_SE
	s_wait_dscnt 0x0
	s_barrier_signal -1
	s_barrier_wait -1
	global_inv scope:SCOPE_SE
	s_clause 0x2
	global_load_b128 v[0:3], v7, s[8:9] offset:9536
	global_load_b128 v[28:31], v7, s[8:9] offset:14336
	global_load_b128 v[32:35], v7, s[8:9] offset:19136
	v_add_nc_u32_e32 v64, 0x4b00, v7
	s_clause 0xb
	global_load_b64 v[5:6], v7, s[8:9] offset:4752
	global_load_b128 v[36:39], v64, s[8:9] offset:4736
	global_load_b128 v[40:43], v7, s[8:9] offset:4736
	;; [unrolled: 1-line block ×7, first 2 shown]
	global_load_b64 v[92:93], v7, s[8:9] offset:9552
	global_load_b64 v[94:95], v7, s[8:9] offset:14352
	;; [unrolled: 1-line block ×4, first 2 shown]
	ds_load_2addr_b64 v[64:67], v24 offset0:128 offset1:248
	ds_load_2addr_b64 v[68:71], v26 offset0:80 offset1:200
	;; [unrolled: 1-line block ×7, first 2 shown]
	s_wait_loadcnt_dscnt 0xb03
	v_mul_f32_e32 v104, v79, v6
	s_wait_loadcnt 0xa
	v_mul_f32_e32 v105, v75, v37
	v_dual_mul_f32 v37, v74, v37 :: v_dual_mul_f32 v106, v77, v39
	s_wait_dscnt 0x2
	v_mul_f32_e32 v107, v83, v3
	v_mul_f32_e32 v101, v69, v31
	;; [unrolled: 1-line block ×3, first 2 shown]
	v_dual_mul_f32 v100, v67, v29 :: v_dual_mul_f32 v31, v68, v31
	s_delay_alu instid0(VALU_DEP_4) | instskip(SKIP_4) | instid1(VALU_DEP_4)
	v_fmac_f32_e32 v107, v82, v2
	v_mul_f32_e32 v7, v65, v1
	v_dual_mul_f32 v1, v64, v1 :: v_dual_mul_f32 v102, v71, v35
	v_mul_f32_e32 v35, v70, v35
	v_fmac_f32_e32 v101, v68, v30
	v_fmac_f32_e32 v7, v64, v0
	v_mul_f32_e32 v33, v72, v33
	v_fma_f32 v64, v65, v0, -v1
	v_mul_f32_e32 v29, v66, v29
	v_dual_fmac_f32 v103, v72, v32 :: v_dual_mul_f32 v0, v82, v3
	s_delay_alu instid0(VALU_DEP_4)
	v_fma_f32 v68, v73, v32, -v33
	s_wait_loadcnt 0x9
	v_mul_f32_e32 v32, v80, v43
	v_fmac_f32_e32 v100, v66, v28
	v_fma_f32 v65, v67, v28, -v29
	v_fma_f32 v66, v69, v30, -v31
	;; [unrolled: 1-line block ×4, first 2 shown]
	ds_load_2addr_b64 v[0:3], v16 offset0:32 offset1:152
	s_wait_dscnt 0x2
	v_mul_f32_e32 v33, v41, v86
	v_fma_f32 v71, v81, v42, -v32
	s_wait_loadcnt 0x8
	v_mul_f32_e32 v32, v84, v47
	v_dual_mul_f32 v39, v76, v39 :: v_dual_fmac_f32 v102, v70, v34
	v_fmac_f32_e32 v105, v74, v36
	v_fma_f32 v72, v75, v36, -v37
	v_fmac_f32_e32 v106, v76, v38
	v_mul_f32_e32 v74, v85, v47
	v_fma_f32 v47, v40, v87, -v33
	s_wait_dscnt 0x1
	v_mul_f32_e32 v36, v90, v45
	v_fma_f32 v76, v85, v46, -v32
	ds_load_2addr_b64 v[32:35], v25 offset0:48 offset1:168
	v_mul_f32_e32 v6, v78, v6
	v_fmac_f32_e32 v104, v78, v5
	v_fma_f32 v73, v77, v38, -v39
	ds_load_2addr_b64 v[28:31], v17 offset0:80 offset1:200
	v_fma_f32 v78, v91, v44, -v36
	ds_load_2addr_b64 v[36:39], v21 offset0:48 offset1:168
	v_fma_f32 v5, v79, v5, -v6
	v_mul_f32_e32 v6, v81, v43
	v_dual_mul_f32 v70, v41, v87 :: v_dual_mul_f32 v75, v91, v45
	s_wait_loadcnt_dscnt 0x603
	v_mul_f32_e32 v82, v1, v55
	s_delay_alu instid0(VALU_DEP_3) | instskip(NEXT) | instid1(VALU_DEP_3)
	v_dual_mul_f32 v77, v89, v49 :: v_dual_fmac_f32 v6, v80, v42
	v_fmac_f32_e32 v70, v40, v86
	v_mul_f32_e32 v40, v88, v49
	v_mul_f32_e32 v80, v3, v51
	v_dual_fmac_f32 v82, v0, v54 :: v_dual_fmac_f32 v75, v90, v44
	s_wait_loadcnt_dscnt 0x402
	v_dual_mul_f32 v44, v0, v55 :: v_dual_mul_f32 v49, v63, v32
	v_fma_f32 v79, v89, v48, -v40
	v_mul_f32_e32 v40, v2, v51
	s_wait_dscnt 0x1
	v_dual_fmac_f32 v80, v2, v50 :: v_dual_mul_f32 v81, v31, v53
	v_mul_f32_e32 v2, v30, v53
	v_fma_f32 v53, v1, v54, -v44
	v_dual_fmac_f32 v77, v88, v48 :: v_dual_mul_f32 v48, v63, v33
	v_fma_f32 v49, v62, v33, -v49
	s_wait_loadcnt_dscnt 0x200
	v_mul_f32_e32 v33, v38, v95
	v_fma_f32 v83, v3, v50, -v40
	v_mul_f32_e32 v44, v29, v57
	v_mul_f32_e32 v45, v28, v57
	ds_load_2addr_b64 v[40:43], v23 offset0:96 offset1:216
	v_fma_f32 v57, v39, v94, -v33
	v_fmac_f32_e32 v81, v30, v52
	v_fma_f32 v52, v31, v52, -v2
	ds_load_2addr_b64 v[0:3], v27 offset0:32 offset1:152
	v_fmac_f32_e32 v44, v28, v56
	v_mul_f32_e32 v28, v34, v59
	v_fma_f32 v45, v29, v56, -v45
	v_fmac_f32_e32 v48, v62, v32
	v_mul_f32_e32 v32, v36, v93
	v_mul_f32_e32 v51, v37, v93
	v_fma_f32 v50, v35, v58, -v28
	ds_load_2addr_b64 v[28:31], v14 offset1:120
	v_fmac_f32_e32 v74, v84, v46
	v_fma_f32 v56, v37, v92, -v32
	v_mul_f32_e32 v55, v39, v95
	v_dual_fmac_f32 v51, v36, v92 :: v_dual_mul_f32 v46, v35, v59
	s_wait_dscnt 0x2
	v_mul_f32_e32 v36, v61, v42
	s_delay_alu instid0(VALU_DEP_3) | instskip(NEXT) | instid1(VALU_DEP_3)
	v_dual_mul_f32 v54, v61, v43 :: v_dual_fmac_f32 v55, v38, v94
	v_fmac_f32_e32 v46, v34, v58
	s_wait_loadcnt_dscnt 0x101
	v_mul_f32_e32 v62, v1, v97
	s_wait_loadcnt 0x0
	v_dual_mul_f32 v37, v0, v97 :: v_dual_mul_f32 v84, v3, v99
	v_fma_f32 v36, v60, v43, -v36
	v_fmac_f32_e32 v54, v60, v42
	v_fmac_f32_e32 v62, v0, v96
	v_mul_f32_e32 v0, v2, v99
	v_fma_f32 v63, v1, v96, -v37
	v_add_f32_e32 v1, v48, v6
	v_fmac_f32_e32 v84, v2, v98
	s_wait_dscnt 0x0
	v_add_f32_e32 v2, v28, v48
	v_fma_f32 v85, v3, v98, -v0
	v_add_f32_e32 v0, v49, v71
	v_fma_f32 v37, -0.5, v1, v28
	s_delay_alu instid0(VALU_DEP_4) | instskip(SKIP_1) | instid1(VALU_DEP_4)
	v_dual_sub_f32 v1, v49, v71 :: v_dual_add_f32 v28, v2, v6
	v_add_f32_e32 v2, v29, v49
	v_fma_f32 v39, -0.5, v0, v29
	s_delay_alu instid0(VALU_DEP_3) | instskip(SKIP_1) | instid1(VALU_DEP_4)
	v_dual_sub_f32 v0, v48, v6 :: v_dual_fmamk_f32 v29, v1, 0xbf5db3d7, v37
	v_fmac_f32_e32 v37, 0x3f5db3d7, v1
	v_dual_add_f32 v1, v47, v5 :: v_dual_add_f32 v42, v2, v71
	v_dual_add_f32 v2, v70, v104 :: v_dual_add_f32 v3, v36, v47
	s_delay_alu instid0(VALU_DEP_2) | instskip(SKIP_2) | instid1(VALU_DEP_4)
	v_dual_fmamk_f32 v43, v0, 0x3f5db3d7, v39 :: v_dual_fmac_f32 v36, -0.5, v1
	v_sub_f32_e32 v1, v70, v104
	v_add_f32_e32 v6, v54, v70
	v_fmac_f32_e32 v54, -0.5, v2
	v_dual_sub_f32 v2, v47, v5 :: v_dual_fmac_f32 v39, 0xbf5db3d7, v0
	s_delay_alu instid0(VALU_DEP_4)
	v_fmamk_f32 v0, v1, 0x3f5db3d7, v36
	v_fmac_f32_e32 v36, 0xbf5db3d7, v1
	ds_load_2addr_b64 v[32:35], v20 offset0:112 offset1:232
	v_fmamk_f32 v1, v2, 0xbf5db3d7, v54
	v_fmac_f32_e32 v54, 0x3f5db3d7, v2
	v_mul_f32_e32 v47, 0xbf5db3d7, v0
	v_dual_mul_f32 v48, 0xbf5db3d7, v36 :: v_dual_add_f32 v49, v3, v5
	v_mul_f32_e32 v58, 0.5, v0
	s_delay_alu instid0(VALU_DEP_3) | instskip(NEXT) | instid1(VALU_DEP_3)
	v_dual_add_f32 v38, v6, v104 :: v_dual_fmac_f32 v47, 0.5, v1
	v_dual_mul_f32 v59, -0.5, v36 :: v_dual_fmac_f32 v48, -0.5, v54
	s_delay_alu instid0(VALU_DEP_3) | instskip(NEXT) | instid1(VALU_DEP_3)
	v_fmac_f32_e32 v58, 0x3f5db3d7, v1
	v_dual_add_f32 v1, v42, v49 :: v_dual_add_f32 v2, v29, v47
	v_dual_sub_f32 v36, v29, v47 :: v_dual_sub_f32 v29, v42, v49
	v_add_f32_e32 v42, v46, v107
	v_dual_add_f32 v0, v28, v38 :: v_dual_add_f32 v5, v37, v48
	v_add_f32_e32 v3, v43, v58
	v_sub_f32_e32 v28, v28, v38
	v_dual_sub_f32 v38, v37, v48 :: v_dual_sub_f32 v37, v43, v58
	v_add_f32_e32 v43, v30, v46
	v_fma_f32 v30, -0.5, v42, v30
	v_sub_f32_e32 v42, v50, v69
	v_add_f32_e32 v47, v50, v69
	s_delay_alu instid0(VALU_DEP_4) | instskip(SKIP_1) | instid1(VALU_DEP_4)
	v_dual_fmac_f32 v59, 0x3f5db3d7, v54 :: v_dual_add_f32 v48, v43, v107
	v_add_f32_e32 v43, v31, v50
	v_fmamk_f32 v49, v42, 0xbf5db3d7, v30
	v_fmac_f32_e32 v30, 0x3f5db3d7, v42
	v_dual_add_f32 v42, v64, v56 :: v_dual_fmac_f32 v31, -0.5, v47
	v_sub_f32_e32 v46, v46, v107
	v_add_f32_e32 v54, v43, v69
	v_add_f32_e32 v43, v7, v51
	;; [unrolled: 1-line block ×3, first 2 shown]
	v_dual_fmac_f32 v45, -0.5, v42 :: v_dual_sub_f32 v42, v7, v51
	v_dual_fmamk_f32 v58, v46, 0x3f5db3d7, v31 :: v_dual_add_f32 v7, v44, v7
	s_delay_alu instid0(VALU_DEP_4) | instskip(SKIP_1) | instid1(VALU_DEP_4)
	v_dual_fmac_f32 v44, -0.5, v43 :: v_dual_sub_f32 v43, v64, v56
	v_fmac_f32_e32 v31, 0xbf5db3d7, v46
	v_fmamk_f32 v46, v42, 0x3f5db3d7, v45
	v_fmac_f32_e32 v45, 0xbf5db3d7, v42
	v_add_f32_e32 v7, v7, v51
	v_fmamk_f32 v50, v43, 0xbf5db3d7, v44
	s_delay_alu instid0(VALU_DEP_4)
	v_dual_add_f32 v6, v39, v59 :: v_dual_mul_f32 v51, 0xbf5db3d7, v46
	v_sub_f32_e32 v39, v39, v59
	v_fmac_f32_e32 v44, 0x3f5db3d7, v43
	v_dual_mul_f32 v59, 0xbf5db3d7, v45 :: v_dual_add_f32 v56, v47, v56
	v_dual_mul_f32 v60, 0.5, v46 :: v_dual_mul_f32 v61, -0.5, v45
	v_dual_fmac_f32 v51, 0.5, v50 :: v_dual_add_f32 v42, v48, v7
	v_dual_sub_f32 v48, v48, v7 :: v_dual_add_f32 v7, v82, v101
	s_delay_alu instid0(VALU_DEP_3) | instskip(NEXT) | instid1(VALU_DEP_3)
	v_dual_fmac_f32 v59, -0.5, v44 :: v_dual_fmac_f32 v60, 0x3f5db3d7, v50
	v_dual_fmac_f32 v61, 0x3f5db3d7, v44 :: v_dual_add_f32 v44, v49, v51
	v_dual_add_f32 v43, v54, v56 :: v_dual_sub_f32 v50, v49, v51
	s_wait_dscnt 0x0
	v_dual_sub_f32 v49, v54, v56 :: v_dual_add_f32 v54, v32, v82
	v_fma_f32 v7, -0.5, v7, v32
	v_sub_f32_e32 v32, v53, v66
	v_add_f32_e32 v46, v30, v59
	v_sub_f32_e32 v30, v30, v59
	v_add_f32_e32 v56, v53, v66
	v_add_f32_e32 v53, v33, v53
	v_fmamk_f32 v59, v32, 0xbf5db3d7, v7
	v_dual_fmac_f32 v7, 0x3f5db3d7, v32 :: v_dual_add_f32 v32, v65, v57
	v_add_f32_e32 v45, v58, v60
	v_add_f32_e32 v47, v31, v61
	v_sub_f32_e32 v51, v58, v60
	v_sub_f32_e32 v31, v31, v61
	v_add_f32_e32 v58, v54, v101
	v_fma_f32 v61, -0.5, v56, v33
	v_dual_sub_f32 v33, v82, v101 :: v_dual_add_f32 v64, v53, v66
	v_add_f32_e32 v54, v52, v65
	v_fmac_f32_e32 v52, -0.5, v32
	v_dual_add_f32 v56, v81, v100 :: v_dual_add_f32 v53, v100, v55
	v_sub_f32_e32 v32, v100, v55
	v_fmamk_f32 v66, v33, 0x3f5db3d7, v61
	s_delay_alu instid0(VALU_DEP_3) | instskip(NEXT) | instid1(VALU_DEP_4)
	v_dual_fmac_f32 v61, 0xbf5db3d7, v33 :: v_dual_add_f32 v56, v56, v55
	v_fmac_f32_e32 v81, -0.5, v53
	v_sub_f32_e32 v53, v65, v57
	v_fmamk_f32 v33, v32, 0x3f5db3d7, v52
	v_dual_fmac_f32 v52, 0xbf5db3d7, v32 :: v_dual_add_f32 v57, v54, v57
	s_delay_alu instid0(VALU_DEP_3) | instskip(SKIP_1) | instid1(VALU_DEP_3)
	v_dual_add_f32 v32, v58, v56 :: v_dual_fmamk_f32 v55, v53, 0xbf5db3d7, v81
	v_fmac_f32_e32 v81, 0x3f5db3d7, v53
	v_dual_mul_f32 v60, 0xbf5db3d7, v33 :: v_dual_mul_f32 v65, 0xbf5db3d7, v52
	v_dual_mul_f32 v69, 0.5, v33 :: v_dual_mul_f32 v70, -0.5, v52
	v_sub_f32_e32 v56, v58, v56
	s_delay_alu instid0(VALU_DEP_3) | instskip(NEXT) | instid1(VALU_DEP_3)
	v_dual_fmac_f32 v60, 0.5, v55 :: v_dual_fmac_f32 v65, -0.5, v81
	v_dual_fmac_f32 v69, 0x3f5db3d7, v55 :: v_dual_fmac_f32 v70, 0x3f5db3d7, v81
	s_delay_alu instid0(VALU_DEP_2) | instskip(NEXT) | instid1(VALU_DEP_3)
	v_dual_add_f32 v33, v64, v57 :: v_dual_add_f32 v52, v59, v60
	v_add_f32_e32 v54, v7, v65
	v_sub_f32_e32 v58, v59, v60
	v_dual_sub_f32 v60, v7, v65 :: v_dual_add_f32 v7, v80, v102
	v_dual_sub_f32 v57, v64, v57 :: v_dual_add_f32 v64, v34, v80
	v_add_f32_e32 v53, v66, v69
	v_add_f32_e32 v55, v61, v70
	s_delay_alu instid0(VALU_DEP_4) | instskip(SKIP_4) | instid1(VALU_DEP_4)
	v_fma_f32 v7, -0.5, v7, v34
	v_dual_sub_f32 v34, v83, v67 :: v_dual_sub_f32 v59, v66, v69
	v_sub_f32_e32 v61, v61, v70
	v_add_f32_e32 v65, v83, v67
	v_dual_add_f32 v69, v64, v102 :: v_dual_add_f32 v64, v35, v83
	v_fmamk_f32 v70, v34, 0xbf5db3d7, v7
	v_dual_fmac_f32 v7, 0x3f5db3d7, v34 :: v_dual_add_f32 v34, v68, v63
	s_delay_alu instid0(VALU_DEP_4) | instskip(SKIP_2) | instid1(VALU_DEP_4)
	v_fmac_f32_e32 v35, -0.5, v65
	v_sub_f32_e32 v65, v80, v102
	v_dual_add_f32 v71, v64, v67 :: v_dual_add_f32 v64, v103, v62
	v_dual_add_f32 v66, v79, v68 :: v_dual_fmac_f32 v79, -0.5, v34
	v_sub_f32_e32 v34, v103, v62
	s_delay_alu instid0(VALU_DEP_4)
	v_fmamk_f32 v80, v65, 0x3f5db3d7, v35
	v_add_f32_e32 v67, v77, v103
	v_dual_fmac_f32 v77, -0.5, v64 :: v_dual_sub_f32 v64, v68, v63
	v_fmac_f32_e32 v35, 0xbf5db3d7, v65
	v_fmamk_f32 v65, v34, 0x3f5db3d7, v79
	v_fmac_f32_e32 v79, 0xbf5db3d7, v34
	s_delay_alu instid0(VALU_DEP_4) | instskip(SKIP_1) | instid1(VALU_DEP_3)
	v_dual_add_f32 v34, v67, v62 :: v_dual_fmamk_f32 v67, v64, 0xbf5db3d7, v77
	v_fmac_f32_e32 v77, 0x3f5db3d7, v64
	v_dual_mul_f32 v81, 0xbf5db3d7, v65 :: v_dual_mul_f32 v82, 0xbf5db3d7, v79
	v_mul_f32_e32 v79, -0.5, v79
	v_dual_add_f32 v83, v66, v63 :: v_dual_mul_f32 v86, 0.5, v65
	v_add_f32_e32 v62, v69, v34
	s_delay_alu instid0(VALU_DEP_4) | instskip(NEXT) | instid1(VALU_DEP_4)
	v_fmac_f32_e32 v82, -0.5, v77
	v_dual_fmac_f32 v79, 0x3f5db3d7, v77 :: v_dual_sub_f32 v68, v69, v34
	v_fmac_f32_e32 v81, 0.5, v67
	v_fmac_f32_e32 v86, 0x3f5db3d7, v67
	s_delay_alu instid0(VALU_DEP_4)
	v_add_f32_e32 v66, v7, v82
	v_sub_f32_e32 v34, v7, v82
	v_add_f32_e32 v7, v74, v106
	v_add_f32_e32 v67, v35, v79
	;; [unrolled: 1-line block ×3, first 2 shown]
	v_sub_f32_e32 v35, v35, v79
	v_add_f32_e32 v79, v76, v73
	v_fma_f32 v7, -0.5, v7, v40
	v_sub_f32_e32 v40, v76, v73
	v_add_f32_e32 v76, v41, v76
	s_delay_alu instid0(VALU_DEP_4) | instskip(NEXT) | instid1(VALU_DEP_3)
	v_dual_add_f32 v64, v70, v81 :: v_dual_fmac_f32 v41, -0.5, v79
	v_dual_sub_f32 v70, v70, v81 :: v_dual_fmamk_f32 v79, v40, 0xbf5db3d7, v7
	v_dual_fmac_f32 v7, 0x3f5db3d7, v40 :: v_dual_add_f32 v40, v72, v85
	s_delay_alu instid0(VALU_DEP_4) | instskip(SKIP_2) | instid1(VALU_DEP_4)
	v_add_f32_e32 v81, v76, v73
	v_add_f32_e32 v73, v105, v84
	v_dual_add_f32 v76, v78, v72 :: v_dual_add_f32 v63, v71, v83
	v_fmac_f32_e32 v78, -0.5, v40
	v_dual_sub_f32 v40, v105, v84 :: v_dual_add_f32 v65, v80, v86
	v_sub_f32_e32 v69, v71, v83
	v_sub_f32_e32 v71, v80, v86
	v_add_f32_e32 v80, v77, v106
	v_dual_sub_f32 v74, v74, v106 :: v_dual_add_f32 v77, v75, v105
	v_fmac_f32_e32 v75, -0.5, v73
	v_sub_f32_e32 v72, v72, v85
	v_fmamk_f32 v73, v40, 0x3f5db3d7, v78
	v_fmac_f32_e32 v78, 0xbf5db3d7, v40
	v_fmamk_f32 v82, v74, 0x3f5db3d7, v41
	v_dual_fmac_f32 v41, 0xbf5db3d7, v74 :: v_dual_add_f32 v40, v77, v84
	v_fmamk_f32 v74, v72, 0xbf5db3d7, v75
	v_fmac_f32_e32 v75, 0x3f5db3d7, v72
	v_dual_mul_f32 v83, 0xbf5db3d7, v73 :: v_dual_mul_f32 v84, 0xbf5db3d7, v78
	v_dual_mul_f32 v86, 0.5, v73 :: v_dual_mul_f32 v87, -0.5, v78
	v_sub_f32_e32 v78, v80, v40
	v_add_f32_e32 v85, v76, v85
	s_delay_alu instid0(VALU_DEP_4) | instskip(NEXT) | instid1(VALU_DEP_4)
	v_dual_fmac_f32 v83, 0.5, v74 :: v_dual_fmac_f32 v84, -0.5, v75
	v_dual_fmac_f32 v86, 0x3f5db3d7, v74 :: v_dual_fmac_f32 v87, 0x3f5db3d7, v75
	v_add_f32_e32 v72, v80, v40
	s_delay_alu instid0(VALU_DEP_3) | instskip(NEXT) | instid1(VALU_DEP_4)
	v_add_f32_e32 v74, v79, v83
	v_dual_add_f32 v76, v7, v84 :: v_dual_add_f32 v73, v81, v85
	s_delay_alu instid0(VALU_DEP_4)
	v_add_f32_e32 v75, v82, v86
	v_add_f32_e32 v77, v41, v87
	v_sub_f32_e32 v80, v79, v83
	v_dual_sub_f32 v40, v7, v84 :: v_dual_sub_f32 v79, v81, v85
	v_sub_f32_e32 v81, v82, v86
	v_sub_f32_e32 v41, v41, v87
	global_wb scope:SCOPE_SE
	s_barrier_signal -1
	s_barrier_wait -1
	global_inv scope:SCOPE_SE
	ds_store_2addr_b64 v14, v[0:1], v[42:43] offset1:120
	ds_store_2addr_b64 v25, v[5:6], v[46:47] offset0:48 offset1:168
	ds_store_2addr_b64 v22, v[36:37], v[50:51] offset0:96 offset1:216
	;; [unrolled: 1-line block ×14, first 2 shown]
	global_wb scope:SCOPE_SE
	s_wait_dscnt 0x0
	s_barrier_signal -1
	s_barrier_wait -1
	global_inv scope:SCOPE_SE
	s_and_saveexec_b32 s0, vcc_lo
	s_cbranch_execz .LBB0_21
; %bb.20:
	v_mul_lo_u32 v2, s3, v12
	v_mul_lo_u32 v3, s2, v13
	v_mad_co_u64_u32 v[0:1], null, s2, v12, 0
	v_lshl_add_u32 v7, v8, 3, 0
	v_mov_b32_e32 v9, v4
	v_lshlrev_b64_e32 v[5:6], 3, v[10:11]
	ds_load_2addr_b64 v[10:13], v7 offset1:120
	v_add3_u32 v1, v1, v3, v2
	v_add_nc_u32_e32 v2, 0x400, v7
	v_add_nc_u32_e32 v3, 0x78, v8
	v_lshlrev_b64_e32 v[18:19], 3, v[8:9]
	s_delay_alu instid0(VALU_DEP_4)
	v_lshlrev_b64_e32 v[0:1], 3, v[0:1]
	ds_load_2addr_b64 v[14:17], v2 offset0:112 offset1:232
	v_lshlrev_b64_e32 v[20:21], 3, v[3:4]
	v_add_nc_u32_e32 v3, 0xf0, v8
	v_add_co_u32 v2, vcc_lo, s6, v0
	s_wait_alu 0xfffd
	v_add_co_ci_u32_e32 v9, vcc_lo, s7, v1, vcc_lo
	s_delay_alu instid0(VALU_DEP_3) | instskip(NEXT) | instid1(VALU_DEP_3)
	v_lshlrev_b64_e32 v[0:1], 3, v[3:4]
	v_add_co_u32 v27, vcc_lo, v2, v5
	s_wait_alu 0xfffd
	s_delay_alu instid0(VALU_DEP_3) | instskip(SKIP_1) | instid1(VALU_DEP_3)
	v_add_co_ci_u32_e32 v28, vcc_lo, v9, v6, vcc_lo
	v_add_nc_u32_e32 v3, 0x168, v8
	v_add_co_u32 v5, vcc_lo, v27, v18
	s_wait_alu 0xfffd
	s_delay_alu instid0(VALU_DEP_3)
	v_add_co_ci_u32_e32 v6, vcc_lo, v28, v19, vcc_lo
	v_add_co_u32 v18, vcc_lo, v27, v20
	s_wait_alu 0xfffd
	v_add_co_ci_u32_e32 v19, vcc_lo, v28, v21, vcc_lo
	v_lshlrev_b64_e32 v[20:21], 3, v[3:4]
	v_add_co_u32 v0, vcc_lo, v27, v0
	v_add_nc_u32_e32 v3, 0x1e0, v8
	s_wait_alu 0xfffd
	v_add_co_ci_u32_e32 v1, vcc_lo, v28, v1, vcc_lo
	s_delay_alu instid0(VALU_DEP_4)
	v_add_co_u32 v20, vcc_lo, v27, v20
	v_add_nc_u32_e32 v2, 0xc00, v7
	s_wait_alu 0xfffd
	v_add_co_ci_u32_e32 v21, vcc_lo, v28, v21, vcc_lo
	v_lshlrev_b64_e32 v[22:23], 3, v[3:4]
	v_add_nc_u32_e32 v3, 0x258, v8
	s_wait_dscnt 0x1
	s_clause 0x1
	global_store_b64 v[5:6], v[10:11], off
	global_store_b64 v[18:19], v[12:13], off
	s_wait_dscnt 0x0
	s_clause 0x1
	global_store_b64 v[0:1], v[14:15], off
	global_store_b64 v[20:21], v[16:17], off
	ds_load_2addr_b64 v[9:12], v2 offset0:96 offset1:216
	v_add_nc_u32_e32 v2, 0x1400, v7
	v_lshlrev_b64_e32 v[0:1], 3, v[3:4]
	v_add_nc_u32_e32 v3, 0x2d0, v8
	v_add_co_u32 v5, vcc_lo, v27, v22
	ds_load_2addr_b64 v[13:16], v2 offset0:80 offset1:200
	s_wait_alu 0xfffd
	v_add_co_ci_u32_e32 v6, vcc_lo, v28, v23, vcc_lo
	v_lshlrev_b64_e32 v[17:18], 3, v[3:4]
	v_add_nc_u32_e32 v3, 0x348, v8
	v_add_co_u32 v0, vcc_lo, v27, v0
	s_wait_alu 0xfffd
	v_add_co_ci_u32_e32 v1, vcc_lo, v28, v1, vcc_lo
	s_delay_alu instid0(VALU_DEP_3) | instskip(SKIP_4) | instid1(VALU_DEP_4)
	v_lshlrev_b64_e32 v[19:20], 3, v[3:4]
	v_add_co_u32 v17, vcc_lo, v27, v17
	v_add_nc_u32_e32 v3, 0x3c0, v8
	s_wait_alu 0xfffd
	v_add_co_ci_u32_e32 v18, vcc_lo, v28, v18, vcc_lo
	v_add_co_u32 v19, vcc_lo, v27, v19
	v_add_nc_u32_e32 v2, 0x1c00, v7
	s_wait_alu 0xfffd
	v_add_co_ci_u32_e32 v20, vcc_lo, v28, v20, vcc_lo
	v_lshlrev_b64_e32 v[21:22], 3, v[3:4]
	v_add_nc_u32_e32 v3, 0x438, v8
	s_wait_dscnt 0x1
	s_clause 0x1
	global_store_b64 v[5:6], v[9:10], off
	global_store_b64 v[0:1], v[11:12], off
	s_wait_dscnt 0x0
	s_clause 0x1
	global_store_b64 v[17:18], v[13:14], off
	global_store_b64 v[19:20], v[15:16], off
	ds_load_2addr_b64 v[9:12], v2 offset0:64 offset1:184
	v_add_nc_u32_e32 v2, 0x2400, v7
	v_lshlrev_b64_e32 v[0:1], 3, v[3:4]
	v_add_nc_u32_e32 v3, 0x4b0, v8
	v_add_co_u32 v5, vcc_lo, v27, v21
	ds_load_2addr_b64 v[13:16], v2 offset0:48 offset1:168
	s_wait_alu 0xfffd
	v_add_co_ci_u32_e32 v6, vcc_lo, v28, v22, vcc_lo
	v_lshlrev_b64_e32 v[17:18], 3, v[3:4]
	v_add_nc_u32_e32 v3, 0x528, v8
	v_add_co_u32 v0, vcc_lo, v27, v0
	s_wait_alu 0xfffd
	v_add_co_ci_u32_e32 v1, vcc_lo, v28, v1, vcc_lo
	s_delay_alu instid0(VALU_DEP_3) | instskip(SKIP_4) | instid1(VALU_DEP_4)
	v_lshlrev_b64_e32 v[19:20], 3, v[3:4]
	v_add_co_u32 v17, vcc_lo, v27, v17
	v_add_nc_u32_e32 v3, 0x5a0, v8
	s_wait_alu 0xfffd
	v_add_co_ci_u32_e32 v18, vcc_lo, v28, v18, vcc_lo
	;; [unrolled: 33-line block ×4, first 2 shown]
	v_add_co_u32 v19, vcc_lo, v27, v19
	v_add_nc_u32_e32 v2, 0x4800, v7
	s_wait_alu 0xfffd
	v_add_co_ci_u32_e32 v20, vcc_lo, v28, v20, vcc_lo
	v_lshlrev_b64_e32 v[21:22], 3, v[3:4]
	v_add_nc_u32_e32 v3, 0x9d8, v8
	s_wait_dscnt 0x1
	s_clause 0x1
	global_store_b64 v[5:6], v[9:10], off
	global_store_b64 v[0:1], v[11:12], off
	s_wait_dscnt 0x0
	s_clause 0x1
	global_store_b64 v[17:18], v[13:14], off
	global_store_b64 v[19:20], v[15:16], off
	ds_load_2addr_b64 v[9:12], v2 offset0:96 offset1:216
	v_add_nc_u32_e32 v2, 0x5000, v7
	v_lshlrev_b64_e32 v[0:1], 3, v[3:4]
	v_add_nc_u32_e32 v3, 0xa50, v8
	v_add_co_u32 v5, vcc_lo, v27, v21
	ds_load_2addr_b64 v[13:16], v2 offset0:80 offset1:200
	s_wait_alu 0xfffd
	v_add_co_ci_u32_e32 v6, vcc_lo, v28, v22, vcc_lo
	v_lshlrev_b64_e32 v[17:18], 3, v[3:4]
	v_add_nc_u32_e32 v3, 0xac8, v8
	v_add_co_u32 v0, vcc_lo, v27, v0
	s_wait_alu 0xfffd
	v_add_co_ci_u32_e32 v1, vcc_lo, v28, v1, vcc_lo
	s_delay_alu instid0(VALU_DEP_3) | instskip(SKIP_4) | instid1(VALU_DEP_3)
	v_lshlrev_b64_e32 v[19:20], 3, v[3:4]
	v_add_nc_u32_e32 v3, 0xb40, v8
	v_add_co_u32 v17, vcc_lo, v27, v17
	s_wait_alu 0xfffd
	v_add_co_ci_u32_e32 v18, vcc_lo, v28, v18, vcc_lo
	v_lshlrev_b64_e32 v[21:22], 3, v[3:4]
	v_add_nc_u32_e32 v3, 0xbb8, v8
	v_add_co_u32 v19, vcc_lo, v27, v19
	s_wait_alu 0xfffd
	v_add_co_ci_u32_e32 v20, vcc_lo, v28, v20, vcc_lo
	v_add_nc_u32_e32 v2, 0x5800, v7
	s_wait_dscnt 0x1
	s_clause 0x1
	global_store_b64 v[5:6], v[9:10], off
	global_store_b64 v[0:1], v[11:12], off
	s_wait_dscnt 0x0
	s_clause 0x1
	global_store_b64 v[17:18], v[13:14], off
	global_store_b64 v[19:20], v[15:16], off
	v_lshlrev_b64_e32 v[0:1], 3, v[3:4]
	v_add_nc_u32_e32 v3, 0xc30, v8
	v_add_co_u32 v5, vcc_lo, v27, v21
	ds_load_2addr_b64 v[9:12], v2 offset0:64 offset1:184
	v_add_nc_u32_e32 v2, 0x6000, v7
	v_lshlrev_b64_e32 v[17:18], 3, v[3:4]
	v_add_nc_u32_e32 v3, 0xca8, v8
	s_wait_alu 0xfffd
	v_add_co_ci_u32_e32 v6, vcc_lo, v28, v22, vcc_lo
	v_add_co_u32 v0, vcc_lo, v27, v0
	ds_load_2addr_b64 v[13:16], v2 offset0:48 offset1:168
	v_add_nc_u32_e32 v2, 0x6800, v7
	s_wait_alu 0xfffd
	v_add_co_ci_u32_e32 v1, vcc_lo, v28, v1, vcc_lo
	v_lshlrev_b64_e32 v[21:22], 3, v[3:4]
	v_add_nc_u32_e32 v3, 0xd20, v8
	v_add_co_u32 v23, vcc_lo, v27, v17
	s_wait_alu 0xfffd
	v_add_co_ci_u32_e32 v24, vcc_lo, v28, v18, vcc_lo
	ds_load_2addr_b64 v[17:20], v2 offset0:32 offset1:152
	v_lshlrev_b64_e32 v[25:26], 3, v[3:4]
	v_add_nc_u32_e32 v3, 0xd98, v8
	v_add_co_u32 v7, vcc_lo, v27, v21
	s_wait_alu 0xfffd
	v_add_co_ci_u32_e32 v8, vcc_lo, v28, v22, vcc_lo
	s_delay_alu instid0(VALU_DEP_3) | instskip(SKIP_3) | instid1(VALU_DEP_3)
	v_lshlrev_b64_e32 v[2:3], 3, v[3:4]
	v_add_co_u32 v21, vcc_lo, v27, v25
	s_wait_alu 0xfffd
	v_add_co_ci_u32_e32 v22, vcc_lo, v28, v26, vcc_lo
	v_add_co_u32 v2, vcc_lo, v27, v2
	s_wait_alu 0xfffd
	v_add_co_ci_u32_e32 v3, vcc_lo, v28, v3, vcc_lo
	s_wait_dscnt 0x2
	s_clause 0x1
	global_store_b64 v[5:6], v[9:10], off
	global_store_b64 v[0:1], v[11:12], off
	s_wait_dscnt 0x1
	s_clause 0x1
	global_store_b64 v[23:24], v[13:14], off
	global_store_b64 v[7:8], v[15:16], off
	;; [unrolled: 4-line block ×3, first 2 shown]
.LBB0_21:
	s_nop 0
	s_sendmsg sendmsg(MSG_DEALLOC_VGPRS)
	s_endpgm
	.section	.rodata,"a",@progbits
	.p2align	6, 0x0
	.amdhsa_kernel fft_rtc_back_len3600_factors_10_10_6_6_wgs_120_tpt_120_halfLds_sp_op_CI_CI_unitstride_sbrr_C2R_dirReg
		.amdhsa_group_segment_fixed_size 0
		.amdhsa_private_segment_fixed_size 0
		.amdhsa_kernarg_size 104
		.amdhsa_user_sgpr_count 2
		.amdhsa_user_sgpr_dispatch_ptr 0
		.amdhsa_user_sgpr_queue_ptr 0
		.amdhsa_user_sgpr_kernarg_segment_ptr 1
		.amdhsa_user_sgpr_dispatch_id 0
		.amdhsa_user_sgpr_private_segment_size 0
		.amdhsa_wavefront_size32 1
		.amdhsa_uses_dynamic_stack 0
		.amdhsa_enable_private_segment 0
		.amdhsa_system_sgpr_workgroup_id_x 1
		.amdhsa_system_sgpr_workgroup_id_y 0
		.amdhsa_system_sgpr_workgroup_id_z 0
		.amdhsa_system_sgpr_workgroup_info 0
		.amdhsa_system_vgpr_workitem_id 0
		.amdhsa_next_free_vgpr 167
		.amdhsa_next_free_sgpr 39
		.amdhsa_reserve_vcc 1
		.amdhsa_float_round_mode_32 0
		.amdhsa_float_round_mode_16_64 0
		.amdhsa_float_denorm_mode_32 3
		.amdhsa_float_denorm_mode_16_64 3
		.amdhsa_fp16_overflow 0
		.amdhsa_workgroup_processor_mode 1
		.amdhsa_memory_ordered 1
		.amdhsa_forward_progress 0
		.amdhsa_round_robin_scheduling 0
		.amdhsa_exception_fp_ieee_invalid_op 0
		.amdhsa_exception_fp_denorm_src 0
		.amdhsa_exception_fp_ieee_div_zero 0
		.amdhsa_exception_fp_ieee_overflow 0
		.amdhsa_exception_fp_ieee_underflow 0
		.amdhsa_exception_fp_ieee_inexact 0
		.amdhsa_exception_int_div_zero 0
	.end_amdhsa_kernel
	.text
.Lfunc_end0:
	.size	fft_rtc_back_len3600_factors_10_10_6_6_wgs_120_tpt_120_halfLds_sp_op_CI_CI_unitstride_sbrr_C2R_dirReg, .Lfunc_end0-fft_rtc_back_len3600_factors_10_10_6_6_wgs_120_tpt_120_halfLds_sp_op_CI_CI_unitstride_sbrr_C2R_dirReg
                                        ; -- End function
	.section	.AMDGPU.csdata,"",@progbits
; Kernel info:
; codeLenInByte = 18516
; NumSgprs: 41
; NumVgprs: 167
; ScratchSize: 0
; MemoryBound: 0
; FloatMode: 240
; IeeeMode: 1
; LDSByteSize: 0 bytes/workgroup (compile time only)
; SGPRBlocks: 5
; VGPRBlocks: 20
; NumSGPRsForWavesPerEU: 41
; NumVGPRsForWavesPerEU: 167
; Occupancy: 9
; WaveLimiterHint : 1
; COMPUTE_PGM_RSRC2:SCRATCH_EN: 0
; COMPUTE_PGM_RSRC2:USER_SGPR: 2
; COMPUTE_PGM_RSRC2:TRAP_HANDLER: 0
; COMPUTE_PGM_RSRC2:TGID_X_EN: 1
; COMPUTE_PGM_RSRC2:TGID_Y_EN: 0
; COMPUTE_PGM_RSRC2:TGID_Z_EN: 0
; COMPUTE_PGM_RSRC2:TIDIG_COMP_CNT: 0
	.text
	.p2alignl 7, 3214868480
	.fill 96, 4, 3214868480
	.type	__hip_cuid_f6bc56fb74a9b85b,@object ; @__hip_cuid_f6bc56fb74a9b85b
	.section	.bss,"aw",@nobits
	.globl	__hip_cuid_f6bc56fb74a9b85b
__hip_cuid_f6bc56fb74a9b85b:
	.byte	0                               ; 0x0
	.size	__hip_cuid_f6bc56fb74a9b85b, 1

	.ident	"AMD clang version 19.0.0git (https://github.com/RadeonOpenCompute/llvm-project roc-6.4.0 25133 c7fe45cf4b819c5991fe208aaa96edf142730f1d)"
	.section	".note.GNU-stack","",@progbits
	.addrsig
	.addrsig_sym __hip_cuid_f6bc56fb74a9b85b
	.amdgpu_metadata
---
amdhsa.kernels:
  - .args:
      - .actual_access:  read_only
        .address_space:  global
        .offset:         0
        .size:           8
        .value_kind:     global_buffer
      - .offset:         8
        .size:           8
        .value_kind:     by_value
      - .actual_access:  read_only
        .address_space:  global
        .offset:         16
        .size:           8
        .value_kind:     global_buffer
      - .actual_access:  read_only
        .address_space:  global
        .offset:         24
        .size:           8
        .value_kind:     global_buffer
      - .actual_access:  read_only
        .address_space:  global
        .offset:         32
        .size:           8
        .value_kind:     global_buffer
      - .offset:         40
        .size:           8
        .value_kind:     by_value
      - .actual_access:  read_only
        .address_space:  global
        .offset:         48
        .size:           8
        .value_kind:     global_buffer
      - .actual_access:  read_only
        .address_space:  global
        .offset:         56
        .size:           8
        .value_kind:     global_buffer
      - .offset:         64
        .size:           4
        .value_kind:     by_value
      - .actual_access:  read_only
        .address_space:  global
        .offset:         72
        .size:           8
        .value_kind:     global_buffer
      - .actual_access:  read_only
        .address_space:  global
        .offset:         80
        .size:           8
        .value_kind:     global_buffer
      - .actual_access:  read_only
        .address_space:  global
        .offset:         88
        .size:           8
        .value_kind:     global_buffer
      - .actual_access:  write_only
        .address_space:  global
        .offset:         96
        .size:           8
        .value_kind:     global_buffer
    .group_segment_fixed_size: 0
    .kernarg_segment_align: 8
    .kernarg_segment_size: 104
    .language:       OpenCL C
    .language_version:
      - 2
      - 0
    .max_flat_workgroup_size: 120
    .name:           fft_rtc_back_len3600_factors_10_10_6_6_wgs_120_tpt_120_halfLds_sp_op_CI_CI_unitstride_sbrr_C2R_dirReg
    .private_segment_fixed_size: 0
    .sgpr_count:     41
    .sgpr_spill_count: 0
    .symbol:         fft_rtc_back_len3600_factors_10_10_6_6_wgs_120_tpt_120_halfLds_sp_op_CI_CI_unitstride_sbrr_C2R_dirReg.kd
    .uniform_work_group_size: 1
    .uses_dynamic_stack: false
    .vgpr_count:     167
    .vgpr_spill_count: 0
    .wavefront_size: 32
    .workgroup_processor_mode: 1
amdhsa.target:   amdgcn-amd-amdhsa--gfx1201
amdhsa.version:
  - 1
  - 2
...

	.end_amdgpu_metadata
